;; amdgpu-corpus repo=ROCm/rocFFT kind=compiled arch=gfx950 opt=O3
	.text
	.amdgcn_target "amdgcn-amd-amdhsa--gfx950"
	.amdhsa_code_object_version 6
	.protected	bluestein_single_back_len1792_dim1_sp_op_CI_CI ; -- Begin function bluestein_single_back_len1792_dim1_sp_op_CI_CI
	.globl	bluestein_single_back_len1792_dim1_sp_op_CI_CI
	.p2align	8
	.type	bluestein_single_back_len1792_dim1_sp_op_CI_CI,@function
bluestein_single_back_len1792_dim1_sp_op_CI_CI: ; @bluestein_single_back_len1792_dim1_sp_op_CI_CI
; %bb.0:
	s_load_dwordx4 s[12:15], s[0:1], 0x28
	v_mul_u32_u24_e32 v1, 0x125, v0
	v_mov_b32_e32 v67, 0
	v_add_u32_sdwa v70, s2, v1 dst_sel:DWORD dst_unused:UNUSED_PAD src0_sel:DWORD src1_sel:WORD_1
	v_mov_b32_e32 v71, v67
	s_waitcnt lgkmcnt(0)
	v_cmp_gt_u64_e32 vcc, s[12:13], v[70:71]
	s_and_saveexec_b64 s[2:3], vcc
	s_cbranch_execz .LBB0_10
; %bb.1:
	s_load_dwordx4 s[4:7], s[0:1], 0x18
	s_load_dwordx4 s[8:11], s[0:1], 0x0
	v_mov_b32_e32 v2, s14
	v_mov_b32_e32 v3, s15
	s_movk_i32 s2, 0xe0
	s_waitcnt lgkmcnt(0)
	s_load_dwordx4 s[12:15], s[4:5], 0x0
	v_mul_lo_u16_sdwa v1, v1, s2 dst_sel:DWORD dst_unused:UNUSED_PAD src0_sel:WORD_1 src1_sel:DWORD
	v_sub_u16_e32 v66, v0, v1
	v_mov_b32_e32 v20, 0xe00
	v_lshlrev_b32_e32 v64, 3, v66
	s_waitcnt lgkmcnt(0)
	v_mad_u64_u32 v[0:1], s[2:3], s14, v70, 0
	v_mov_b32_e32 v4, v1
	v_mad_u64_u32 v[4:5], s[2:3], s15, v70, v[4:5]
	v_mov_b32_e32 v1, v4
	v_mad_u64_u32 v[4:5], s[2:3], s12, v66, 0
	v_mov_b32_e32 v6, v5
	v_mad_u64_u32 v[6:7], s[2:3], s13, v66, v[6:7]
	v_mov_b32_e32 v5, v6
	v_lshl_add_u64 v[0:1], v[0:1], 3, v[2:3]
	v_lshl_add_u64 v[0:1], v[4:5], 3, v[0:1]
	global_load_dwordx2 v[2:3], v[0:1], off
	v_mad_u64_u32 v[0:1], s[2:3], s12, v20, v[0:1]
	s_mul_i32 s4, s13, 0xe00
	v_add_u32_e32 v1, s4, v1
	v_mov_b32_e32 v65, v67
	v_mad_u64_u32 v[6:7], s[2:3], s12, v20, v[0:1]
	v_lshl_add_u64 v[4:5], s[8:9], 0, v[64:65]
	v_add_u32_e32 v7, s4, v7
	s_movk_i32 s2, 0x1000
	v_add_co_u32_e32 v8, vcc, s2, v4
	v_mad_u64_u32 v[10:11], s[2:3], s12, v20, v[6:7]
	s_nop 0
	v_addc_co_u32_e32 v9, vcc, 0, v5, vcc
	v_add_u32_e32 v11, s4, v11
	s_movk_i32 s2, 0x2000
	v_mov_b32_e32 v14, 0xffffdd00
	global_load_dwordx2 v[84:85], v64, s[8:9]
	global_load_dwordx2 v[80:81], v64, s[8:9] offset:3584
	v_add_co_u32_e32 v12, vcc, s2, v4
	v_mad_u64_u32 v[14:15], s[2:3], s12, v14, v[10:11]
	global_load_dwordx2 v[0:1], v[0:1], off
	s_mul_i32 s2, s13, 0xffffdd00
	global_load_dwordx2 v[6:7], v[6:7], off
	s_sub_i32 s2, s2, s12
	global_load_dwordx2 v[76:77], v[8:9], off offset:3072
	v_add_u32_e32 v15, s2, v15
	v_addc_co_u32_e32 v13, vcc, 0, v5, vcc
	global_load_dwordx2 v[16:17], v[10:11], off
	global_load_dwordx2 v[18:19], v[14:15], off
	global_load_dwordx2 v[74:75], v64, s[8:9] offset:1792
	global_load_dwordx2 v[82:83], v[12:13], off offset:2560
	v_mad_u64_u32 v[10:11], s[2:3], s12, v20, v[14:15]
	v_add_u32_e32 v11, s4, v11
	global_load_dwordx2 v[14:15], v[10:11], off
	global_load_dwordx2 v[68:69], v[12:13], off offset:768
	global_load_dwordx2 v[78:79], v[8:9], off offset:1280
	v_mad_u64_u32 v[8:9], s[2:3], s12, v20, v[10:11]
	v_add_u32_e32 v9, s4, v9
	global_load_dwordx2 v[10:11], v[8:9], off
	v_mad_u64_u32 v[8:9], s[2:3], s12, v20, v[8:9]
	s_movk_i32 s2, 0x3000
	s_nop 0
	v_add_co_u32_e32 v4, vcc, s2, v4
	v_add_u32_e32 v9, s4, v9
	s_nop 0
	v_addc_co_u32_e32 v5, vcc, 0, v5, vcc
	global_load_dwordx2 v[72:73], v[4:5], off offset:256
	global_load_dwordx2 v[12:13], v[8:9], off
	v_add_u32_e32 v20, 0x2a00, v64
	s_load_dwordx4 s[4:7], s[6:7], 0x0
	s_mov_b64 s[2:3], 0xe0
	v_lshlrev_b32_e32 v65, 5, v66
	v_lshlrev_b32_e32 v21, 2, v66
	s_load_dwordx2 s[12:13], s[0:1], 0x38
	v_cmp_gt_u16_e64 s[0:1], 32, v66
                                        ; implicit-def: $vgpr120
                                        ; implicit-def: $vgpr122
                                        ; implicit-def: $vgpr116
                                        ; implicit-def: $vgpr118
                                        ; implicit-def: $vgpr126
                                        ; implicit-def: $vgpr128
                                        ; implicit-def: $vgpr124
                                        ; implicit-def: $vgpr58
                                        ; implicit-def: $vgpr62
	s_waitcnt vmcnt(14)
	v_mul_f32_e32 v4, v3, v85
	v_mul_f32_e32 v5, v2, v85
	v_fmac_f32_e32 v4, v2, v84
	v_fma_f32 v5, v3, v84, -v5
	s_waitcnt vmcnt(12)
	v_mul_f32_e32 v2, v1, v81
	v_mul_f32_e32 v3, v0, v81
	v_fmac_f32_e32 v2, v0, v80
	v_fma_f32 v3, v1, v80, -v3
	;; [unrolled: 5-line block ×3, first 2 shown]
	ds_write_b64 v64, v[0:1] offset:7168
	s_waitcnt vmcnt(6)
	v_mul_f32_e32 v0, v17, v83
	v_mul_f32_e32 v1, v16, v83
	v_fmac_f32_e32 v0, v16, v82
	v_fma_f32 v1, v17, v82, -v1
	ds_write_b64 v64, v[0:1] offset:10752
	v_mul_f32_e32 v0, v19, v75
	v_mul_f32_e32 v1, v18, v75
	v_fmac_f32_e32 v0, v18, v74
	v_fma_f32 v1, v19, v74, -v1
	ds_write_b64 v64, v[2:3] offset:3584
	ds_write2_b64 v64, v[4:5], v[0:1] offset1:224
	s_waitcnt vmcnt(3)
	v_mul_f32_e32 v0, v15, v79
	v_mul_f32_e32 v1, v14, v79
	v_fmac_f32_e32 v0, v14, v78
	v_fma_f32 v1, v15, v78, -v1
	ds_write_b64 v64, v[0:1] offset:5376
	s_waitcnt vmcnt(2)
	v_mul_f32_e32 v0, v11, v69
	v_mul_f32_e32 v1, v10, v69
	v_fmac_f32_e32 v0, v10, v68
	v_fma_f32 v1, v11, v68, -v1
	ds_write_b64 v64, v[0:1] offset:8960
	s_waitcnt vmcnt(0)
	v_mul_f32_e32 v0, v13, v73
	v_mul_f32_e32 v1, v12, v73
	v_fmac_f32_e32 v0, v12, v72
	v_fma_f32 v1, v13, v72, -v1
	v_add_u32_e32 v18, 0xe00, v64
	v_add_u32_e32 v19, 0x1c00, v64
	ds_write_b64 v64, v[0:1] offset:12544
	s_waitcnt lgkmcnt(0)
	s_barrier
	ds_read2_b64 v[0:3], v64 offset1:224
	ds_read2_b64 v[4:7], v18 offset1:224
	;; [unrolled: 1-line block ×4, first 2 shown]
	v_lshl_add_u64 v[16:17], v[66:67], 0, s[2:3]
	v_lshlrev_b32_e32 v67, 5, v16
	v_and_b32_e32 v17, 3, v66
	s_waitcnt lgkmcnt(1)
	v_pk_add_f32 v[8:9], v[0:1], v[8:9] neg_lo:[0,1] neg_hi:[0,1]
	s_waitcnt lgkmcnt(0)
	v_pk_add_f32 v[12:13], v[4:5], v[12:13] neg_lo:[0,1] neg_hi:[0,1]
	v_pk_fma_f32 v[0:1], v[0:1], 2.0, v[8:9] op_sel_hi:[1,0,1] neg_lo:[0,0,1] neg_hi:[0,0,1]
	v_pk_fma_f32 v[4:5], v[4:5], 2.0, v[12:13] op_sel_hi:[1,0,1] neg_lo:[0,0,1] neg_hi:[0,0,1]
	v_pk_add_f32 v[24:25], v[8:9], v[12:13] op_sel:[0,1] op_sel_hi:[1,0] neg_lo:[0,1] neg_hi:[0,1]
	v_pk_add_f32 v[12:13], v[8:9], v[12:13] op_sel:[0,1] op_sel_hi:[1,0]
	v_pk_add_f32 v[22:23], v[0:1], v[4:5] neg_lo:[0,1] neg_hi:[0,1]
	v_mov_b32_e32 v25, v13
	v_pk_fma_f32 v[28:29], v[8:9], 2.0, v[24:25] op_sel_hi:[1,0,1] neg_lo:[0,0,1] neg_hi:[0,0,1]
	v_pk_add_f32 v[8:9], v[2:3], v[10:11] neg_lo:[0,1] neg_hi:[0,1]
	v_pk_add_f32 v[10:11], v[6:7], v[14:15] neg_lo:[0,1] neg_hi:[0,1]
	v_pk_fma_f32 v[26:27], v[0:1], 2.0, v[22:23] op_sel_hi:[1,0,1] neg_lo:[0,0,1] neg_hi:[0,0,1]
	v_pk_fma_f32 v[2:3], v[2:3], 2.0, v[8:9] op_sel_hi:[1,0,1] neg_lo:[0,0,1] neg_hi:[0,0,1]
	;; [unrolled: 1-line block ×3, first 2 shown]
	s_nop 0
	v_pk_add_f32 v[0:1], v[2:3], v[0:1] neg_lo:[0,1] neg_hi:[0,1]
	s_barrier
	v_pk_fma_f32 v[4:5], v[2:3], 2.0, v[0:1] op_sel_hi:[1,0,1] neg_lo:[0,0,1] neg_hi:[0,0,1]
	v_pk_add_f32 v[2:3], v[8:9], v[10:11] op_sel:[0,1] op_sel_hi:[1,0] neg_lo:[0,1] neg_hi:[0,1]
	v_pk_add_f32 v[10:11], v[8:9], v[10:11] op_sel:[0,1] op_sel_hi:[1,0]
	s_nop 0
	v_mov_b32_e32 v3, v11
	v_pk_fma_f32 v[6:7], v[8:9], 2.0, v[2:3] op_sel_hi:[1,0,1] neg_lo:[0,0,1] neg_hi:[0,0,1]
	ds_write_b128 v65, v[26:29]
	ds_write_b128 v65, v[22:25] offset:16
	ds_write_b128 v67, v[4:7]
	ds_write_b128 v67, v[0:3] offset:16
	v_mad_u64_u32 v[4:5], s[2:3], v17, 24, s[10:11]
	s_waitcnt lgkmcnt(0)
	s_barrier
	global_load_dwordx4 v[0:3], v[4:5], off
	global_load_dwordx2 v[86:87], v[4:5], off offset:16
	ds_read2_b64 v[4:7], v18 offset1:224
	ds_read2_b64 v[8:11], v20 offset1:224
	;; [unrolled: 1-line block ×3, first 2 shown]
	s_movk_i32 s2, 0x3f0
	v_and_or_b32 v36, v21, s2, v17
	v_lshlrev_b32_e32 v119, 3, v36
	v_lshlrev_b32_e32 v44, 2, v16
	s_movk_i32 s2, 0x7f0
	s_waitcnt vmcnt(1) lgkmcnt(2)
	v_pk_mul_f32 v[22:23], v[6:7], v[0:1] op_sel:[0,1]
	v_pk_mul_f32 v[26:27], v[4:5], v[0:1] op_sel:[0,1]
	v_pk_fma_f32 v[30:31], v[6:7], v[0:1], v[22:23] op_sel:[0,0,1] op_sel_hi:[1,1,0] neg_lo:[0,0,1] neg_hi:[0,0,1]
	v_pk_fma_f32 v[6:7], v[6:7], v[0:1], v[22:23] op_sel:[0,0,1] op_sel_hi:[1,0,0]
	v_pk_fma_f32 v[22:23], v[4:5], v[0:1], v[26:27] op_sel:[0,0,1] op_sel_hi:[1,1,0] neg_lo:[0,0,1] neg_hi:[0,0,1]
	v_pk_fma_f32 v[4:5], v[4:5], v[0:1], v[26:27] op_sel:[0,0,1] op_sel_hi:[1,0,0]
	v_mov_b32_e32 v31, v7
	v_mov_b32_e32 v23, v5
	ds_read2_b64 v[4:7], v64 offset1:224
	s_waitcnt vmcnt(0) lgkmcnt(2)
	v_pk_mul_f32 v[24:25], v[10:11], v[86:87] op_sel:[0,1]
	v_pk_mul_f32 v[28:29], v[8:9], v[86:87] op_sel:[0,1]
	v_mov_b32_e32 v90, v3
	v_pk_fma_f32 v[26:27], v[10:11], v[86:87], v[24:25] op_sel:[0,0,1] op_sel_hi:[1,1,0] neg_lo:[0,0,1] neg_hi:[0,0,1]
	v_pk_fma_f32 v[10:11], v[10:11], v[86:87], v[24:25] op_sel:[0,0,1] op_sel_hi:[1,0,0]
	v_pk_fma_f32 v[24:25], v[8:9], v[86:87], v[28:29] op_sel:[0,0,1] op_sel_hi:[1,1,0] neg_lo:[0,0,1] neg_hi:[0,0,1]
	v_pk_fma_f32 v[8:9], v[8:9], v[86:87], v[28:29] op_sel:[0,0,1] op_sel_hi:[1,0,0]
	s_waitcnt lgkmcnt(1)
	v_pk_mul_f32 v[28:29], v[14:15], v[90:91] op_sel_hi:[1,0]
	v_pk_mul_f32 v[32:33], v[12:13], v[90:91] op_sel_hi:[1,0]
	v_pk_fma_f32 v[34:35], v[14:15], v[2:3], v[28:29] op_sel:[0,0,1] op_sel_hi:[1,1,0] neg_lo:[0,0,1] neg_hi:[0,0,1]
	v_pk_fma_f32 v[14:15], v[14:15], v[2:3], v[28:29] op_sel:[0,0,1] op_sel_hi:[1,0,0]
	v_pk_fma_f32 v[28:29], v[12:13], v[2:3], v[32:33] op_sel:[0,0,1] op_sel_hi:[1,1,0] neg_lo:[0,0,1] neg_hi:[0,0,1]
	v_pk_fma_f32 v[12:13], v[12:13], v[2:3], v[32:33] op_sel:[0,0,1] op_sel_hi:[1,0,0]
	v_mov_b32_e32 v25, v9
	v_mov_b32_e32 v29, v13
	;; [unrolled: 1-line block ×4, first 2 shown]
	s_waitcnt lgkmcnt(0)
	v_pk_add_f32 v[14:15], v[4:5], v[28:29] neg_lo:[0,1] neg_hi:[0,1]
	v_pk_add_f32 v[24:25], v[22:23], v[24:25] neg_lo:[0,1] neg_hi:[0,1]
	;; [unrolled: 1-line block ×3, first 2 shown]
	v_pk_fma_f32 v[4:5], v[4:5], 2.0, v[14:15] op_sel_hi:[1,0,1] neg_lo:[0,0,1] neg_hi:[0,0,1]
	v_pk_fma_f32 v[22:23], v[22:23], 2.0, v[24:25] op_sel_hi:[1,0,1] neg_lo:[0,0,1] neg_hi:[0,0,1]
	v_pk_add_f32 v[26:27], v[14:15], v[24:25] op_sel:[0,1] op_sel_hi:[1,0] neg_lo:[0,1] neg_hi:[0,1]
	v_pk_add_f32 v[24:25], v[14:15], v[24:25] op_sel:[0,1] op_sel_hi:[1,0]
	v_pk_add_f32 v[22:23], v[4:5], v[22:23] neg_lo:[0,1] neg_hi:[0,1]
	v_mov_b32_e32 v27, v25
	v_pk_add_f32 v[10:11], v[6:7], v[34:35] neg_lo:[0,1] neg_hi:[0,1]
	v_pk_fma_f32 v[4:5], v[4:5], 2.0, v[22:23] op_sel_hi:[1,0,1] neg_lo:[0,0,1] neg_hi:[0,0,1]
	v_pk_fma_f32 v[14:15], v[14:15], 2.0, v[26:27] op_sel_hi:[1,0,1] neg_lo:[0,0,1] neg_hi:[0,0,1]
	;; [unrolled: 1-line block ×4, first 2 shown]
	s_barrier
	ds_write2_b64 v119, v[4:5], v[14:15] offset1:4
	ds_write2_b64 v119, v[22:23], v[26:27] offset0:8 offset1:12
	v_pk_add_f32 v[4:5], v[10:11], v[8:9] op_sel:[0,1] op_sel_hi:[1,0] neg_lo:[0,1] neg_hi:[0,1]
	v_pk_add_f32 v[8:9], v[10:11], v[8:9] op_sel:[0,1] op_sel_hi:[1,0]
	v_and_or_b32 v3, v44, s2, v17
	v_pk_add_f32 v[12:13], v[6:7], v[12:13] neg_lo:[0,1] neg_hi:[0,1]
	v_mov_b32_e32 v5, v9
	v_lshlrev_b32_e32 v71, 3, v3
	v_pk_fma_f32 v[6:7], v[6:7], 2.0, v[12:13] op_sel_hi:[1,0,1] neg_lo:[0,0,1] neg_hi:[0,0,1]
	v_pk_fma_f32 v[8:9], v[10:11], 2.0, v[4:5] op_sel_hi:[1,0,1] neg_lo:[0,0,1] neg_hi:[0,0,1]
	v_and_b32_e32 v3, 15, v66
	ds_write2_b64 v71, v[6:7], v[8:9] offset1:4
	ds_write2_b64 v71, v[12:13], v[4:5] offset0:8 offset1:12
	v_mad_u64_u32 v[8:9], s[2:3], v3, 24, s[10:11]
	s_waitcnt lgkmcnt(0)
	s_barrier
	global_load_dwordx4 v[4:7], v[8:9], off offset:96
	global_load_dwordx2 v[88:89], v[8:9], off offset:112
	s_movk_i32 s2, 0x3c0
	v_and_or_b32 v8, v21, s2, v3
	v_lshlrev_b32_e32 v121, 3, v8
	ds_read2_b64 v[8:11], v18 offset1:224
	ds_read2_b64 v[12:15], v20 offset1:224
	;; [unrolled: 1-line block ×4, first 2 shown]
	s_waitcnt lgkmcnt(0)
	s_barrier
	s_movk_i32 s2, 0x7c0
	v_and_or_b32 v3, v44, s2, v3
	v_lshlrev_b32_e32 v123, 3, v3
	v_and_b32_e32 v3, 63, v16
	v_mov_b32_e32 v106, v1
	s_waitcnt vmcnt(1)
	v_pk_mul_f32 v[30:31], v[10:11], v[4:5] op_sel:[0,1]
	v_pk_mul_f32 v[32:33], v[8:9], v[4:5] op_sel:[0,1]
	s_waitcnt vmcnt(0)
	v_pk_mul_f32 v[34:35], v[14:15], v[88:89] op_sel:[0,1]
	v_pk_mul_f32 v[36:37], v[12:13], v[88:89] op_sel:[0,1]
	v_mov_b32_e32 v92, v7
	v_pk_fma_f32 v[38:39], v[10:11], v[4:5], v[30:31] op_sel:[0,0,1] op_sel_hi:[1,1,0] neg_lo:[0,0,1] neg_hi:[0,0,1]
	v_pk_fma_f32 v[10:11], v[10:11], v[4:5], v[30:31] op_sel:[0,0,1] op_sel_hi:[1,0,0]
	v_pk_fma_f32 v[30:31], v[8:9], v[4:5], v[32:33] op_sel:[0,0,1] op_sel_hi:[1,1,0] neg_lo:[0,0,1] neg_hi:[0,0,1]
	v_pk_fma_f32 v[8:9], v[8:9], v[4:5], v[32:33] op_sel:[0,0,1] op_sel_hi:[1,0,0]
	v_pk_fma_f32 v[32:33], v[14:15], v[88:89], v[34:35] op_sel:[0,0,1] op_sel_hi:[1,1,0] neg_lo:[0,0,1] neg_hi:[0,0,1]
	v_pk_fma_f32 v[14:15], v[14:15], v[88:89], v[34:35] op_sel:[0,0,1] op_sel_hi:[1,0,0]
	v_pk_fma_f32 v[34:35], v[12:13], v[88:89], v[36:37] op_sel:[0,0,1] op_sel_hi:[1,1,0] neg_lo:[0,0,1] neg_hi:[0,0,1]
	v_pk_fma_f32 v[12:13], v[12:13], v[88:89], v[36:37] op_sel:[0,0,1] op_sel_hi:[1,0,0]
	v_pk_mul_f32 v[36:37], v[24:25], v[92:93] op_sel_hi:[1,0]
	v_pk_mul_f32 v[40:41], v[22:23], v[92:93] op_sel_hi:[1,0]
	v_pk_fma_f32 v[42:43], v[24:25], v[6:7], v[36:37] op_sel:[0,0,1] op_sel_hi:[1,1,0] neg_lo:[0,0,1] neg_hi:[0,0,1]
	v_pk_fma_f32 v[24:25], v[24:25], v[6:7], v[36:37] op_sel:[0,0,1] op_sel_hi:[1,0,0]
	v_pk_fma_f32 v[36:37], v[22:23], v[6:7], v[40:41] op_sel:[0,0,1] op_sel_hi:[1,1,0] neg_lo:[0,0,1] neg_hi:[0,0,1]
	v_pk_fma_f32 v[22:23], v[22:23], v[6:7], v[40:41] op_sel:[0,0,1] op_sel_hi:[1,0,0]
	v_mov_b32_e32 v31, v9
	v_mov_b32_e32 v35, v13
	;; [unrolled: 1-line block ×3, first 2 shown]
	v_pk_add_f32 v[8:9], v[30:31], v[34:35] neg_lo:[0,1] neg_hi:[0,1]
	v_pk_add_f32 v[12:13], v[26:27], v[36:37] neg_lo:[0,1] neg_hi:[0,1]
	v_mov_b32_e32 v33, v15
	v_pk_fma_f32 v[14:15], v[30:31], 2.0, v[8:9] op_sel_hi:[1,0,1] neg_lo:[0,0,1] neg_hi:[0,0,1]
	v_pk_add_f32 v[30:31], v[12:13], v[8:9] op_sel:[0,1] op_sel_hi:[1,0] neg_lo:[0,1] neg_hi:[0,1]
	v_pk_add_f32 v[8:9], v[12:13], v[8:9] op_sel:[0,1] op_sel_hi:[1,0]
	v_pk_fma_f32 v[26:27], v[26:27], 2.0, v[12:13] op_sel_hi:[1,0,1] neg_lo:[0,0,1] neg_hi:[0,0,1]
	v_mov_b32_e32 v39, v11
	v_mov_b32_e32 v43, v25
	;; [unrolled: 1-line block ×3, first 2 shown]
	v_pk_add_f32 v[8:9], v[26:27], v[14:15] neg_lo:[0,1] neg_hi:[0,1]
	v_pk_add_f32 v[10:11], v[38:39], v[32:33] neg_lo:[0,1] neg_hi:[0,1]
	;; [unrolled: 1-line block ×3, first 2 shown]
	v_pk_fma_f32 v[14:15], v[26:27], 2.0, v[8:9] op_sel_hi:[1,0,1] neg_lo:[0,0,1] neg_hi:[0,0,1]
	ds_write2_b64 v121, v[8:9], v[30:31] offset0:32 offset1:48
	v_pk_fma_f32 v[8:9], v[12:13], 2.0, v[30:31] op_sel_hi:[1,0,1] neg_lo:[0,0,1] neg_hi:[0,0,1]
	v_pk_fma_f32 v[24:25], v[38:39], 2.0, v[10:11] op_sel_hi:[1,0,1] neg_lo:[0,0,1] neg_hi:[0,0,1]
	;; [unrolled: 1-line block ×3, first 2 shown]
	v_pk_add_f32 v[32:33], v[22:23], v[10:11] op_sel:[0,1] op_sel_hi:[1,0] neg_lo:[0,1] neg_hi:[0,1]
	ds_write2_b64 v121, v[14:15], v[8:9] offset1:16
	v_pk_add_f32 v[8:9], v[22:23], v[10:11] op_sel:[0,1] op_sel_hi:[1,0]
	v_and_b32_e32 v7, 63, v66
	v_mov_b32_e32 v33, v9
	v_pk_add_f32 v[8:9], v[28:29], v[24:25] neg_lo:[0,1] neg_hi:[0,1]
	v_pk_fma_f32 v[12:13], v[22:23], 2.0, v[32:33] op_sel_hi:[1,0,1] neg_lo:[0,0,1] neg_hi:[0,0,1]
	v_pk_fma_f32 v[10:11], v[28:29], 2.0, v[8:9] op_sel_hi:[1,0,1] neg_lo:[0,0,1] neg_hi:[0,0,1]
	v_mad_u64_u32 v[22:23], s[2:3], v3, 24, s[10:11]
	ds_write2_b64 v123, v[10:11], v[12:13] offset1:16
	ds_write2_b64 v123, v[8:9], v[32:33] offset0:32 offset1:48
	s_waitcnt lgkmcnt(0)
	s_barrier
	v_mad_u64_u32 v[24:25], s[2:3], v7, 24, s[10:11]
	global_load_dwordx4 v[12:15], v[22:23], off offset:480
	global_load_dwordx4 v[8:11], v[24:25], off offset:480
	global_load_dwordx2 v[94:95], v[22:23], off offset:496
	global_load_dwordx2 v[96:97], v[24:25], off offset:496
	s_movk_i32 s2, 0x300
	v_and_or_b32 v7, v21, s2, v7
	ds_read2_b64 v[22:25], v18 offset1:224
	ds_read2_b64 v[26:29], v20 offset1:224
	;; [unrolled: 1-line block ×4, first 2 shown]
	s_movk_i32 s3, 0x700
	v_and_or_b32 v3, v44, s3, v3
	v_lshlrev_b32_e32 v127, 3, v7
	s_waitcnt lgkmcnt(0)
	s_barrier
	v_lshlrev_b32_e32 v125, 3, v3
	v_cmp_lt_u16_e64 s[2:3], 31, v66
	v_mov_b32_e32 v104, v5
	s_waitcnt vmcnt(3)
	v_pk_mul_f32 v[34:35], v[24:25], v[12:13] op_sel_hi:[1,0]
	s_waitcnt vmcnt(2)
	v_pk_mul_f32 v[36:37], v[22:23], v[8:9] op_sel:[0,1]
	s_waitcnt vmcnt(1)
	v_pk_mul_f32 v[38:39], v[28:29], v[94:95] op_sel_hi:[1,0]
	s_waitcnt vmcnt(0)
	v_pk_mul_f32 v[40:41], v[26:27], v[96:97] op_sel:[0,1]
	v_mov_b32_e32 v100, v15
	v_mov_b32_e32 v98, v11
	v_pk_fma_f32 v[42:43], v[24:25], v[12:13], v[34:35] op_sel:[0,1,1] op_sel_hi:[1,1,0]
	v_pk_fma_f32 v[24:25], v[24:25], v[12:13], v[34:35] op_sel:[0,1,1] op_sel_hi:[1,1,0] neg_lo:[1,0,0] neg_hi:[1,0,0]
	v_pk_fma_f32 v[34:35], v[22:23], v[8:9], v[36:37] op_sel:[0,0,1] op_sel_hi:[1,1,0] neg_lo:[0,0,1] neg_hi:[0,0,1]
	v_pk_fma_f32 v[22:23], v[22:23], v[8:9], v[36:37] op_sel:[0,0,1] op_sel_hi:[1,0,0]
	v_pk_fma_f32 v[36:37], v[28:29], v[94:95], v[38:39] op_sel:[0,1,1] op_sel_hi:[1,1,0]
	v_pk_fma_f32 v[28:29], v[28:29], v[94:95], v[38:39] op_sel:[0,1,1] op_sel_hi:[1,1,0] neg_lo:[1,0,0] neg_hi:[1,0,0]
	v_pk_fma_f32 v[38:39], v[26:27], v[96:97], v[40:41] op_sel:[0,0,1] op_sel_hi:[1,1,0] neg_lo:[0,0,1] neg_hi:[0,0,1]
	v_pk_fma_f32 v[26:27], v[26:27], v[96:97], v[40:41] op_sel:[0,0,1] op_sel_hi:[1,0,0]
	v_pk_mul_f32 v[40:41], v[20:21], v[100:101] op_sel_hi:[1,0]
	v_pk_mul_f32 v[44:45], v[18:19], v[98:99] op_sel_hi:[1,0]
	v_pk_fma_f32 v[46:47], v[20:21], v[14:15], v[40:41] op_sel:[0,0,1] op_sel_hi:[1,1,0] neg_lo:[0,0,1] neg_hi:[0,0,1]
	v_pk_fma_f32 v[20:21], v[20:21], v[14:15], v[40:41] op_sel:[0,0,1] op_sel_hi:[1,0,0]
	v_pk_fma_f32 v[40:41], v[18:19], v[10:11], v[44:45] op_sel:[0,0,1] op_sel_hi:[1,1,0] neg_lo:[0,0,1] neg_hi:[0,0,1]
	v_pk_fma_f32 v[18:19], v[18:19], v[10:11], v[44:45] op_sel:[0,0,1] op_sel_hi:[1,0,0]
	v_mov_b32_e32 v35, v23
	v_mov_b32_e32 v39, v27
	;; [unrolled: 1-line block ×5, first 2 shown]
	v_pk_add_f32 v[18:19], v[34:35], v[38:39] neg_lo:[0,1] neg_hi:[0,1]
	v_mov_b32_e32 v47, v21
	v_pk_add_f32 v[22:23], v[30:31], v[40:41] neg_lo:[0,1] neg_hi:[0,1]
	v_pk_add_f32 v[20:21], v[42:43], v[36:37] neg_lo:[0,1] neg_hi:[0,1]
	v_pk_fma_f32 v[24:25], v[34:35], 2.0, v[18:19] op_sel_hi:[1,0,1] neg_lo:[0,0,1] neg_hi:[0,0,1]
	v_pk_add_f32 v[26:27], v[32:33], v[46:47] neg_lo:[0,1] neg_hi:[0,1]
	v_pk_add_f32 v[34:35], v[22:23], v[18:19] op_sel:[0,1] op_sel_hi:[1,0] neg_lo:[0,1] neg_hi:[0,1]
	v_pk_add_f32 v[18:19], v[22:23], v[18:19] op_sel:[0,1] op_sel_hi:[1,0]
	v_pk_fma_f32 v[30:31], v[30:31], 2.0, v[22:23] op_sel_hi:[1,0,1] neg_lo:[0,0,1] neg_hi:[0,0,1]
	v_pk_fma_f32 v[28:29], v[42:43], 2.0, v[20:21] op_sel_hi:[1,0,1] neg_lo:[0,0,1] neg_hi:[0,0,1]
	;; [unrolled: 1-line block ×3, first 2 shown]
	v_pk_add_f32 v[36:37], v[26:27], v[20:21]
	v_pk_add_f32 v[40:41], v[26:27], v[20:21] neg_lo:[0,1] neg_hi:[0,1]
	v_mov_b32_e32 v35, v19
	v_pk_add_f32 v[18:19], v[30:31], v[24:25] neg_lo:[0,1] neg_hi:[0,1]
	v_mov_b32_e32 v41, v37
	v_pk_add_f32 v[20:21], v[32:33], v[28:29] op_sel:[0,1] op_sel_hi:[1,0] neg_lo:[0,1] neg_hi:[0,1]
	v_pk_fma_f32 v[24:25], v[30:31], 2.0, v[18:19] op_sel_hi:[1,0,1] neg_lo:[0,0,1] neg_hi:[0,0,1]
	ds_write2st64_b64 v127, v[18:19], v[34:35] offset0:2 offset1:3
	v_pk_fma_f32 v[18:19], v[22:23], 2.0, v[34:35] op_sel_hi:[1,0,1] neg_lo:[0,0,1] neg_hi:[0,0,1]
	v_pk_fma_f32 v[22:23], v[32:33], 2.0, v[20:21] op_sel_hi:[1,0,1] neg_lo:[0,0,1] neg_hi:[0,0,1]
	;; [unrolled: 1-line block ×3, first 2 shown]
	ds_write2st64_b64 v127, v[24:25], v[18:19] offset1:1
	ds_write2st64_b64 v125, v[22:23], v[26:27] offset1:1
	ds_write2st64_b64 v125, v[20:21], v[40:41] offset0:2 offset1:3
	s_waitcnt lgkmcnt(0)
	s_barrier
	ds_read_b64 v[114:115], v64 offset:12288
	ds_read2st64_b64 v[44:47], v64 offset1:4
	ds_read2st64_b64 v[52:55], v64 offset0:8 offset1:12
	ds_read2st64_b64 v[48:51], v64 offset0:16 offset1:20
	v_mov_b32_e32 v102, v9
	s_and_saveexec_b64 s[14:15], s[0:1]
	s_cbranch_execz .LBB0_3
; %bb.2:
	v_add_u32_e32 v1, 0x100, v64
	ds_read2st64_b64 v[56:59], v1 offset0:11 offset1:15
	ds_read2st64_b64 v[60:63], v1 offset0:19 offset1:23
	ds_read_b64 v[116:117], v64 offset:14080
	ds_read2st64_b64 v[40:43], v1 offset0:3 offset1:7
	s_waitcnt lgkmcnt(3)
	v_mov_b32_e32 v120, v59
	s_waitcnt lgkmcnt(2)
	v_mov_b32_e32 v122, v63
	;; [unrolled: 2-line block ×3, first 2 shown]
	v_mov_b32_e32 v126, v61
	v_mov_b32_e32 v128, v57
	s_waitcnt lgkmcnt(0)
	v_mov_b32_e32 v124, v43
.LBB0_3:
	s_or_b64 exec, exec, s[14:15]
	v_mad_u64_u32 v[18:19], s[14:15], v66, 48, s[10:11]
	v_and_b32_e32 v1, 0xff, v16
	global_load_dwordx4 v[32:35], v[18:19], off offset:2032
	global_load_dwordx4 v[28:31], v[18:19], off offset:2048
	;; [unrolled: 1-line block ×3, first 2 shown]
	v_mad_u64_u32 v[108:109], s[10:11], v1, 48, s[10:11]
	global_load_dwordx4 v[20:23], v[108:109], off offset:2016
	global_load_dwordx4 v[16:19], v[108:109], off offset:2032
	;; [unrolled: 1-line block ×3, first 2 shown]
	s_waitcnt lgkmcnt(1)
	v_mov_b32_e32 v138, v55
	v_mov_b32_e32 v139, v52
	;; [unrolled: 1-line block ×4, first 2 shown]
	s_waitcnt lgkmcnt(0)
	v_mov_b32_e32 v130, v49
	v_mov_b32_e32 v131, v51
	;; [unrolled: 1-line block ×10, first 2 shown]
	s_mov_b32 s16, 0x3f4a47b2
	s_mov_b32 s18, 0x3eae86e6
	;; [unrolled: 1-line block ×7, first 2 shown]
	v_mov_b32_e32 v107, v106
	v_mov_b32_e32 v91, v90
	;; [unrolled: 1-line block ×12, first 2 shown]
	s_waitcnt vmcnt(5)
	v_mov_b32_e32 v112, v33
	s_waitcnt vmcnt(4)
	v_mul_f32_e32 v1, v51, v29
	s_waitcnt vmcnt(3)
	v_mov_b32_e32 v113, v39
	v_mov_b32_e32 v111, v32
	;; [unrolled: 1-line block ×7, first 2 shown]
	v_fma_f32 v43, v50, v28, -v1
	v_mov_b32_e32 v50, v111
	v_pk_mul_f32 v[138:139], v[138:139], v[112:113]
	s_waitcnt vmcnt(0)
	v_pk_mul_f32 v[154:155], v[118:119], v[26:27] op_sel_hi:[0,1]
	v_pk_mul_f32 v[142:143], v[142:143], v[32:33]
	v_pk_mul_f32 v[156:157], v[124:125], v[20:21] op_sel_hi:[0,1]
	v_pk_mul_f32 v[128:129], v[128:129], v[22:23] op_sel_hi:[0,1]
	v_pk_mul_f32 v[148:149], v[120:121], v[16:17] op_sel_hi:[0,1]
	v_pk_mul_f32 v[150:151], v[126:127], v[18:19] op_sel_hi:[0,1]
	v_pk_mul_f32 v[152:153], v[122:123], v[24:25] op_sel_hi:[0,1]
	v_pk_mul_f32 v[130:131], v[130:131], v[108:109]
	v_pk_fma_f32 v[136:137], v[136:137], v[50:51], v[138:139]
	v_pk_fma_f32 v[50:51], v[54:55], v[50:51], v[138:139] neg_lo:[0,0,1] neg_hi:[0,0,1]
	v_pk_fma_f32 v[54:55], v[116:117], v[26:27], v[154:155] op_sel:[0,0,1] op_sel_hi:[1,1,0] neg_lo:[0,0,1] neg_hi:[0,0,1]
	v_pk_fma_f32 v[116:117], v[116:117], v[26:27], v[154:155] op_sel:[0,0,1] op_sel_hi:[0,1,0]
	v_pk_fma_f32 v[138:139], v[140:141], v[110:111], v[142:143] neg_lo:[0,0,1] neg_hi:[0,0,1]
	v_pk_fma_f32 v[140:141], v[140:141], v[110:111], v[142:143]
	v_pk_fma_f32 v[142:143], v[42:43], v[20:21], v[156:157] op_sel:[0,0,1] op_sel_hi:[1,1,0] neg_lo:[0,0,1] neg_hi:[0,0,1]
	v_pk_fma_f32 v[154:155], v[42:43], v[20:21], v[156:157] op_sel:[0,0,1] op_sel_hi:[0,1,0]
	v_mov_b32_e32 v146, v31
	v_mov_b32_e32 v147, v34
	v_pk_fma_f32 v[158:159], v[56:57], v[22:23], v[128:129] op_sel:[0,0,1] op_sel_hi:[1,1,0] neg_lo:[0,0,1] neg_hi:[0,0,1]
	v_pk_fma_f32 v[56:57], v[56:57], v[22:23], v[128:129] op_sel:[0,0,1] op_sel_hi:[0,1,0]
	v_pk_fma_f32 v[128:129], v[58:59], v[16:17], v[148:149] op_sel:[0,0,1] op_sel_hi:[1,1,0] neg_lo:[0,0,1] neg_hi:[0,0,1]
	v_pk_fma_f32 v[58:59], v[58:59], v[16:17], v[148:149] op_sel:[0,0,1] op_sel_hi:[0,1,0]
	;; [unrolled: 2-line block ×4, first 2 shown]
	v_pk_fma_f32 v[152:153], v[48:49], v[34:35], v[130:131] neg_lo:[0,0,1] neg_hi:[0,0,1]
	v_mov_b32_e32 v48, v115
	v_mov_b32_e32 v143, v155
	;; [unrolled: 1-line block ×5, first 2 shown]
	v_pk_mul_f32 v[48:49], v[48:49], v[146:147]
	v_mov_b32_e32 v129, v59
	v_mov_b32_e32 v149, v61
	v_pk_add_f32 v[58:59], v[142:143], v[54:55]
	v_pk_add_f32 v[60:61], v[142:143], v[54:55] neg_lo:[0,1] neg_hi:[0,1]
	v_mov_b32_e32 v54, v34
	v_mov_b32_e32 v55, v29
	v_mul_f32_e32 v3, v53, v39
	v_mov_b32_e32 v159, v57
	v_pk_fma_f32 v[56:57], v[132:133], v[144:145], v[48:49] neg_lo:[0,0,1] neg_hi:[0,0,1]
	v_pk_fma_f32 v[48:49], v[132:133], v[144:145], v[48:49]
	v_pk_fma_f32 v[130:131], v[134:135], v[54:55], v[130:131]
	v_mul_f32_e32 v114, v114, v31
	v_fma_f32 v53, v52, v38, -v3
	v_mul_f32_e32 v46, v46, v37
	v_mov_b32_e32 v52, v137
	v_mov_b32_e32 v42, v131
	;; [unrolled: 1-line block ×4, first 2 shown]
	v_fmac_f32_e32 v114, v115, v30
	v_fmac_f32_e32 v46, v47, v36
	v_mov_b32_e32 v47, v138
	v_mov_b32_e32 v115, v56
	v_mov_b32_e32 v51, v137
	v_mov_b32_e32 v153, v131
	v_add_f32_e32 v48, v53, v43
	v_pk_add_f32 v[42:43], v[52:53], v[42:43] neg_lo:[0,1] neg_hi:[0,1]
	v_pk_add_f32 v[52:53], v[138:139], v[56:57]
	v_mov_b32_e32 v56, v49
	v_mov_b32_e32 v57, v152
	;; [unrolled: 1-line block ×4, first 2 shown]
	v_add_f32_e32 v135, v46, v114
	v_pk_add_f32 v[46:47], v[46:47], v[114:115] neg_lo:[0,1] neg_hi:[0,1]
	v_pk_add_f32 v[114:115], v[50:51], v[152:153]
	v_pk_add_f32 v[50:51], v[56:57], v[130:131] neg_lo:[0,1] neg_hi:[0,1]
	v_mov_b32_e32 v57, v47
	v_mov_b32_e32 v56, v50
	;; [unrolled: 1-line block ×5, first 2 shown]
	v_pk_add_f32 v[56:57], v[56:57], v[130:131] neg_lo:[0,1] neg_hi:[0,1]
	v_mov_b32_e32 v130, v46
	v_pk_add_f32 v[136:137], v[50:51], v[42:43]
	v_mov_b32_e32 v51, v43
	v_pk_add_f32 v[62:63], v[158:159], v[150:151]
	v_pk_add_f32 v[116:117], v[158:159], v[150:151] neg_lo:[0,1] neg_hi:[0,1]
	v_pk_add_f32 v[132:133], v[128:129], v[148:149]
	v_pk_add_f32 v[128:129], v[148:149], v[128:129] neg_lo:[0,1] neg_hi:[0,1]
	v_pk_add_f32 v[50:51], v[130:131], v[50:51] neg_lo:[0,1] neg_hi:[0,1]
	v_add_f32_e32 v130, v48, v52
	v_mov_b32_e32 v131, v53
	v_add_f32_e32 v139, v115, v135
	v_mov_b32_e32 v138, v114
	v_pk_add_f32 v[130:131], v[130:131], v[138:139]
	v_pk_add_f32 v[138:139], v[132:133], v[62:63] neg_lo:[0,1] neg_hi:[0,1]
	v_pk_add_f32 v[144:145], v[128:129], v[116:117] op_sel:[1,1] op_sel_hi:[0,0] neg_lo:[0,1] neg_hi:[0,1]
	v_pk_add_f32 v[148:149], v[116:117], v[60:61] op_sel:[1,1] op_sel_hi:[0,0] neg_lo:[0,1] neg_hi:[0,1]
	v_mov_b32_e32 v134, v114
	v_mov_b32_e32 v49, v53
	v_pk_mul_f32 v[138:139], v[138:139], s[22:23] op_sel_hi:[1,0]
	v_pk_add_f32 v[140:141], v[58:59], v[132:133] neg_lo:[0,1] neg_hi:[0,1]
	v_pk_mul_f32 v[144:145], v[144:145], s[24:25] op_sel_hi:[1,0]
	v_pk_add_f32 v[146:147], v[60:61], v[128:129] op_sel:[1,1] op_sel_hi:[0,0] neg_lo:[0,1] neg_hi:[0,1]
	v_pk_mul_f32 v[150:151], v[148:149], s[20:21] op_sel_hi:[1,0]
	s_mov_b32 s23, s16
	v_pk_add_f32 v[152:153], v[134:135], v[48:49] neg_lo:[0,1] neg_hi:[0,1]
	s_mov_b32 s25, s18
	v_pk_add_f32 v[44:45], v[44:45], v[130:131]
	v_pk_mul_f32 v[142:143], v[140:141], s[16:17] op_sel_hi:[1,0]
	v_pk_fma_f32 v[140:141], v[140:141], s[16:17], v[138:139] op_sel_hi:[1,0,1]
	v_pk_fma_f32 v[150:151], v[146:147], s[18:19], v[150:151] op_sel_hi:[1,0,1] neg_lo:[1,0,1] neg_hi:[1,0,1]
	v_pk_fma_f32 v[146:147], v[146:147], s[18:19], v[144:145] op_sel_hi:[1,0,1]
	v_pk_mul_f32 v[152:153], v[152:153], s[22:23]
	s_mov_b32 s17, s22
	s_mov_b32 s19, s24
	v_pk_mul_f32 v[56:57], v[56:57], s[24:25]
	v_pk_add_f32 v[154:155], v[52:53], v[114:115] neg_lo:[0,1] neg_hi:[0,1]
	v_pk_add_f32 v[136:137], v[136:137], v[46:47]
	v_pk_fma_f32 v[130:131], v[130:131], s[14:15], v[44:45] op_sel_hi:[1,0,1] neg_lo:[1,0,0] neg_hi:[1,0,0]
	v_pk_fma_f32 v[156:157], v[154:155], s[16:17], v[152:153]
	v_pk_fma_f32 v[158:159], v[50:51], s[18:19], v[56:57]
	v_pk_add_f32 v[156:157], v[156:157], v[130:131]
	v_pk_fma_f32 v[158:159], v[136:137], s[10:11], v[158:159] op_sel_hi:[1,0,1]
	v_mov_b32_e32 v49, v115
	v_pk_add_f32 v[160:161], v[156:157], v[158:159] neg_lo:[0,1] neg_hi:[0,1]
	v_pk_add_f32 v[156:157], v[156:157], v[158:159]
	v_mov_b32_e32 v159, v161
	v_mov_b32_e32 v158, v156
	;; [unrolled: 1-line block ×3, first 2 shown]
	ds_write2st64_b64 v64, v[44:45], v[158:159] offset1:4
	v_pk_add_f32 v[44:45], v[48:49], v[52:53] neg_lo:[0,1] neg_hi:[0,1]
	v_pk_add_f32 v[42:43], v[42:43], v[46:47] neg_lo:[0,1] neg_hi:[0,1]
	v_pk_mul_f32 v[46:47], v[154:155], s[16:17]
	v_pk_mul_f32 v[48:49], v[50:51], s[18:19]
	s_mov_b32 s22, 0x3f3bfb3b
	v_mov_b32_e32 v50, v46
	v_mov_b32_e32 v51, v153
	v_mov_b32_e32 v52, v48
	v_mov_b32_e32 v53, v57
	v_mov_b32_e32 v153, v47
	v_mov_b32_e32 v57, v49
	v_pk_fma_f32 v[50:51], v[44:45], s[22:23], v[50:51] op_sel_hi:[1,0,1] neg_lo:[1,0,1] neg_hi:[1,0,1]
	v_pk_fma_f32 v[52:53], v[42:43], s[20:21], v[52:53] op_sel_hi:[1,0,1] neg_lo:[1,0,1] neg_hi:[1,0,1]
	;; [unrolled: 1-line block ×4, first 2 shown]
	v_pk_add_f32 v[50:51], v[50:51], v[130:131]
	v_pk_fma_f32 v[52:53], v[136:137], s[10:11], v[52:53] op_sel_hi:[1,0,1]
	v_pk_add_f32 v[44:45], v[44:45], v[130:131]
	v_pk_fma_f32 v[42:43], v[136:137], s[10:11], v[42:43] op_sel_hi:[1,0,1]
	v_pk_add_f32 v[114:115], v[50:51], v[52:53] neg_lo:[0,1] neg_hi:[0,1]
	v_pk_add_f32 v[50:51], v[50:51], v[52:53]
	v_pk_add_f32 v[46:47], v[44:45], v[42:43]
	v_pk_add_f32 v[42:43], v[44:45], v[42:43] neg_lo:[0,1] neg_hi:[0,1]
	v_mov_b32_e32 v44, v50
	v_mov_b32_e32 v45, v115
	;; [unrolled: 1-line block ×5, first 2 shown]
	v_pk_add_f32 v[42:43], v[62:63], v[58:59]
	ds_write2st64_b64 v64, v[44:45], v[48:49] offset0:8 offset1:12
	v_mov_b32_e32 v115, v51
	v_mov_b32_e32 v48, v42
	;; [unrolled: 1-line block ×4, first 2 shown]
	ds_write2st64_b64 v64, v[46:47], v[114:115] offset0:16 offset1:20
	v_pk_add_f32 v[44:45], v[62:63], v[58:59] neg_lo:[0,1] neg_hi:[0,1]
	v_pk_add_f32 v[46:47], v[128:129], v[116:117] op_sel:[1,1] op_sel_hi:[0,0]
	v_pk_add_f32 v[42:43], v[48:49], v[42:43]
	v_pk_add_f32 v[46:47], v[46:47], v[60:61] op_sel:[0,1] op_sel_hi:[1,0]
	v_pk_add_f32 v[62:63], v[40:41], v[42:43]
	v_pk_fma_f32 v[40:41], v[44:45], s[22:23], v[138:139] op_sel_hi:[1,0,1] neg_lo:[0,0,1] neg_hi:[0,0,1]
	v_pk_fma_f32 v[44:45], v[44:45], s[22:23], v[142:143] op_sel_hi:[1,0,1] neg_lo:[1,0,1] neg_hi:[1,0,1]
	v_pk_fma_f32 v[48:49], v[148:149], s[20:21], v[144:145] op_sel_hi:[1,0,1] neg_lo:[0,0,1] neg_hi:[0,0,1]
	v_pk_fma_f32 v[42:43], v[42:43], s[14:15], v[62:63] op_sel_hi:[1,0,1] neg_lo:[1,0,0] neg_hi:[1,0,0]
	v_pk_mul_f32 v[50:51], v[46:47], s[10:11] op_sel_hi:[1,0]
	v_mov_b32_e32 v56, v147
	v_mov_b32_e32 v147, v41
	;; [unrolled: 1-line block ×7, first 2 shown]
	v_pk_add_f32 v[44:45], v[44:45], v[42:43]
	v_pk_add_f32 v[40:41], v[40:41], v[42:43] op_sel:[0,1] op_sel_hi:[1,0]
	v_mov_b32_e32 v43, v51
	v_mov_b32_e32 v52, v50
	v_pk_add_f32 v[48:49], v[140:141], v[42:43]
	v_pk_add_f32 v[42:43], v[50:51], v[56:57] op_sel:[1,0] op_sel_hi:[0,1]
	v_pk_fma_f32 v[46:47], v[46:47], s[10:11], v[150:151] op_sel_hi:[1,0,1]
	v_pk_add_f32 v[52:53], v[52:53], v[146:147]
	v_pk_add_f32 v[56:57], v[40:41], v[42:43] neg_lo:[0,1] neg_hi:[0,1]
	v_pk_add_f32 v[50:51], v[40:41], v[42:43]
	v_pk_add_f32 v[42:43], v[44:45], v[46:47]
	v_pk_add_f32 v[46:47], v[44:45], v[46:47] neg_lo:[0,1] neg_hi:[0,1]
	v_mov_b32_e32 v40, v42
	v_mov_b32_e32 v41, v47
	;; [unrolled: 1-line block ×3, first 2 shown]
	v_pk_add_f32 v[44:45], v[48:49], v[52:53]
	v_pk_add_f32 v[42:43], v[52:53], v[48:49] neg_lo:[0,1] neg_hi:[0,1]
	v_pk_add_f32 v[48:49], v[48:49], v[52:53] neg_lo:[0,1] neg_hi:[0,1]
	v_mov_b32_e32 v42, v44
	v_mov_b32_e32 v49, v45
	;; [unrolled: 1-line block ×18, first 2 shown]
	ds_write_b64 v64, v[160:161] offset:12288
	s_and_saveexec_b64 s[10:11], s[0:1]
	s_cbranch_execz .LBB0_5
; %bb.4:
	v_mov_b32_e32 v114, v42
	v_mov_b32_e32 v115, v52
	v_add_u32_e32 v35, 0x100, v64
	ds_write2st64_b64 v35, v[62:63], v[114:115] offset0:3 offset1:7
	v_mov_b32_e32 v62, v51
	v_mov_b32_e32 v63, v49
	ds_write2st64_b64 v35, v[40:41], v[62:63] offset0:11 offset1:15
	v_mov_b32_e32 v62, v53
	v_mov_b32_e32 v63, v43
	;; [unrolled: 3-line block ×3, first 2 shown]
	ds_write_b64 v64, v[62:63] offset:14080
.LBB0_5:
	s_or_b64 exec, exec, s[10:11]
	v_lshlrev_b32_e32 v62, 3, v66
	v_mov_b32_e32 v63, 0
	v_lshl_add_u64 v[62:63], s[8:9], 0, v[62:63]
	v_add_co_u32_e32 v116, vcc, 0x3000, v62
	s_waitcnt lgkmcnt(0)
	s_nop 0
	v_addc_co_u32_e32 v117, vcc, 0, v63, vcc
	s_barrier
	s_mov_b64 s[8:9], 0x3800
	global_load_dwordx2 v[128:129], v[116:117], off offset:2048
	v_lshl_add_u64 v[114:115], v[62:63], 0, s[8:9]
	global_load_dwordx2 v[136:137], v[114:115], off offset:1792
	s_movk_i32 s8, 0x5000
	v_add_co_u32_e32 v116, vcc, s8, v62
	s_movk_i32 s8, 0x6000
	s_nop 0
	v_addc_co_u32_e32 v117, vcc, 0, v63, vcc
	global_load_dwordx2 v[138:139], v[116:117], off offset:1024
	global_load_dwordx2 v[140:141], v[114:115], off offset:3584
	v_add_co_u32_e32 v114, vcc, s8, v62
	s_movk_i32 s8, 0x4000
	s_nop 0
	v_addc_co_u32_e32 v115, vcc, 0, v63, vcc
	v_add_co_u32_e32 v62, vcc, s8, v62
	global_load_dwordx2 v[142:143], v[114:115], off offset:512
	s_nop 0
	v_addc_co_u32_e32 v63, vcc, 0, v63, vcc
	global_load_dwordx2 v[62:63], v[62:63], off offset:3328
	s_nop 0
	global_load_dwordx2 v[144:145], v[114:115], off offset:2304
	global_load_dwordx2 v[146:147], v[116:117], off offset:2816
	ds_read2_b64 v[114:117], v64 offset1:224
	v_add_u32_e32 v35, 0xe00, v64
	v_add_u32_e32 v57, 0x1c00, v64
	;; [unrolled: 1-line block ×6, first 2 shown]
	s_waitcnt vmcnt(7) lgkmcnt(0)
	v_mul_f32_e32 v126, v115, v129
	v_mul_f32_e32 v131, v114, v129
	v_fma_f32 v130, v114, v128, -v126
	v_fmac_f32_e32 v131, v115, v128
	s_waitcnt vmcnt(6)
	v_mul_f32_e32 v132, v117, v137
	v_mul_f32_e32 v149, v116, v137
	ds_write_b64 v64, v[130:131]
	ds_read2_b64 v[128:131], v35 offset1:224
	v_fma_f32 v148, v116, v136, -v132
	ds_read2_b64 v[132:135], v57 offset1:224
	v_fmac_f32_e32 v149, v117, v136
	ds_read2_b64 v[114:117], v118 offset1:224
	s_waitcnt vmcnt(4) lgkmcnt(2)
	v_mul_f32_e32 v126, v129, v141
	v_mul_f32_e32 v137, v128, v141
	s_waitcnt lgkmcnt(1)
	v_mul_f32_e32 v150, v133, v139
	v_mul_f32_e32 v141, v132, v139
	v_fma_f32 v136, v128, v140, -v126
	s_waitcnt vmcnt(3) lgkmcnt(0)
	v_mul_f32_e32 v151, v115, v143
	v_mul_f32_e32 v139, v114, v143
	s_waitcnt vmcnt(2)
	v_mul_f32_e32 v152, v131, v63
	v_mul_f32_e32 v143, v130, v63
	s_waitcnt vmcnt(0)
	v_mul_f32_e32 v153, v135, v147
	v_mul_f32_e32 v63, v134, v147
	;; [unrolled: 1-line block ×4, first 2 shown]
	v_fmac_f32_e32 v137, v129, v140
	v_fma_f32 v140, v132, v138, -v150
	v_fmac_f32_e32 v141, v133, v138
	v_fma_f32 v138, v114, v142, -v151
	v_fmac_f32_e32 v139, v115, v142
	v_fma_f32 v142, v130, v62, -v152
	v_fmac_f32_e32 v143, v131, v62
	v_fma_f32 v62, v134, v146, -v153
	v_fmac_f32_e32 v63, v135, v146
	v_fma_f32 v146, v116, v144, -v154
	v_fmac_f32_e32 v147, v117, v144
	ds_write2_b64 v120, v[148:149], v[136:137] offset1:224
	ds_write2_b64 v122, v[142:143], v[140:141] offset1:224
	;; [unrolled: 1-line block ×3, first 2 shown]
	ds_write_b64 v64, v[146:147] offset:12544
	s_waitcnt lgkmcnt(0)
	s_barrier
	ds_read2_b64 v[114:117], v64 offset1:224
	ds_read2_b64 v[128:131], v35 offset1:224
	;; [unrolled: 1-line block ×4, first 2 shown]
	s_waitcnt lgkmcnt(0)
	s_barrier
	v_pk_add_f32 v[62:63], v[114:115], v[132:133] neg_lo:[0,1] neg_hi:[0,1]
	v_pk_add_f32 v[132:133], v[128:129], v[136:137] neg_lo:[0,1] neg_hi:[0,1]
	v_pk_add_f32 v[140:141], v[116:117], v[134:135] neg_lo:[0,1] neg_hi:[0,1]
	v_pk_add_f32 v[134:135], v[62:63], v[132:133] op_sel:[0,1] op_sel_hi:[1,0]
	v_pk_add_f32 v[142:143], v[62:63], v[132:133] op_sel:[0,1] op_sel_hi:[1,0] neg_lo:[0,1] neg_hi:[0,1]
	v_pk_fma_f32 v[114:115], v[114:115], 2.0, v[62:63] op_sel_hi:[1,0,1] neg_lo:[0,0,1] neg_hi:[0,0,1]
	v_mov_b32_e32 v135, v143
	v_pk_fma_f32 v[128:129], v[128:129], 2.0, v[132:133] op_sel_hi:[1,0,1] neg_lo:[0,0,1] neg_hi:[0,0,1]
	v_pk_fma_f32 v[136:137], v[116:117], 2.0, v[140:141] op_sel_hi:[1,0,1] neg_lo:[0,0,1] neg_hi:[0,0,1]
	;; [unrolled: 1-line block ×3, first 2 shown]
	v_pk_add_f32 v[62:63], v[130:131], v[138:139] neg_lo:[0,1] neg_hi:[0,1]
	v_pk_add_f32 v[132:133], v[114:115], v[128:129] neg_lo:[0,1] neg_hi:[0,1]
	v_pk_fma_f32 v[128:129], v[130:131], 2.0, v[62:63] op_sel_hi:[1,0,1] neg_lo:[0,0,1] neg_hi:[0,0,1]
	v_pk_add_f32 v[130:131], v[140:141], v[62:63] op_sel:[0,1] op_sel_hi:[1,0]
	v_pk_add_f32 v[62:63], v[140:141], v[62:63] op_sel:[0,1] op_sel_hi:[1,0] neg_lo:[0,1] neg_hi:[0,1]
	v_pk_add_f32 v[128:129], v[136:137], v[128:129] neg_lo:[0,1] neg_hi:[0,1]
	v_mov_b32_e32 v131, v63
	v_pk_fma_f32 v[114:115], v[114:115], 2.0, v[132:133] op_sel_hi:[1,0,1] neg_lo:[0,0,1] neg_hi:[0,0,1]
	v_pk_fma_f32 v[136:137], v[136:137], 2.0, v[128:129] op_sel_hi:[1,0,1] neg_lo:[0,0,1] neg_hi:[0,0,1]
	;; [unrolled: 1-line block ×3, first 2 shown]
	ds_write_b128 v65, v[114:117]
	ds_write_b128 v65, v[132:135] offset:16
	ds_write_b128 v67, v[136:139]
	ds_write_b128 v67, v[128:131] offset:16
	s_waitcnt lgkmcnt(0)
	s_barrier
	ds_read2_b64 v[114:117], v35 offset1:224
	ds_read2_b64 v[128:131], v64 offset1:224
	;; [unrolled: 1-line block ×4, first 2 shown]
	s_waitcnt lgkmcnt(0)
	v_pk_mul_f32 v[62:63], v[106:107], v[116:117]
	v_pk_mul_f32 v[106:107], v[106:107], v[114:115]
	v_pk_fma_f32 v[140:141], v[0:1], v[116:117], v[62:63] op_sel:[0,0,1] op_sel_hi:[1,1,0]
	v_pk_fma_f32 v[62:63], v[0:1], v[116:117], v[62:63] op_sel:[0,0,1] op_sel_hi:[1,1,0] neg_lo:[0,0,1] neg_hi:[0,0,1]
	s_barrier
	v_mov_b32_e32 v141, v63
	v_pk_mul_f32 v[62:63], v[90:91], v[134:135]
	s_nop 0
	v_pk_fma_f32 v[116:117], v[2:3], v[134:135], v[62:63] op_sel:[0,0,1] op_sel_hi:[1,1,0]
	v_pk_fma_f32 v[62:63], v[2:3], v[134:135], v[62:63] op_sel:[0,0,1] op_sel_hi:[1,1,0] neg_lo:[0,0,1] neg_hi:[0,0,1]
	s_nop 0
	v_mov_b32_e32 v117, v63
	v_pk_mul_f32 v[62:63], v[86:87], v[138:139]
	s_nop 0
	v_pk_fma_f32 v[134:135], v[60:61], v[138:139], v[62:63] op_sel:[0,0,1] op_sel_hi:[1,1,0]
	v_pk_fma_f32 v[62:63], v[60:61], v[138:139], v[62:63] op_sel:[0,0,1] op_sel_hi:[1,1,0] neg_lo:[0,0,1] neg_hi:[0,0,1]
	v_pk_fma_f32 v[138:139], v[0:1], v[114:115], v[106:107] op_sel:[0,0,1] op_sel_hi:[1,1,0]
	v_pk_fma_f32 v[0:1], v[0:1], v[114:115], v[106:107] op_sel:[0,0,1] op_sel_hi:[1,1,0] neg_lo:[0,0,1] neg_hi:[0,0,1]
	v_mov_b32_e32 v135, v63
	v_mov_b32_e32 v139, v1
	v_pk_mul_f32 v[0:1], v[90:91], v[132:133]
	v_pk_add_f32 v[62:63], v[130:131], v[116:117] neg_lo:[0,1] neg_hi:[0,1]
	v_pk_fma_f32 v[90:91], v[2:3], v[132:133], v[0:1] op_sel:[0,0,1] op_sel_hi:[1,1,0]
	v_pk_fma_f32 v[0:1], v[2:3], v[132:133], v[0:1] op_sel:[0,0,1] op_sel_hi:[1,1,0] neg_lo:[0,0,1] neg_hi:[0,0,1]
	v_pk_fma_f32 v[116:117], v[130:131], 2.0, v[62:63] op_sel_hi:[1,0,1] neg_lo:[0,0,1] neg_hi:[0,0,1]
	v_mov_b32_e32 v91, v1
	v_pk_mul_f32 v[0:1], v[86:87], v[136:137]
	v_pk_add_f32 v[130:131], v[140:141], v[134:135] neg_lo:[0,1] neg_hi:[0,1]
	v_pk_fma_f32 v[2:3], v[60:61], v[136:137], v[0:1] op_sel:[0,0,1] op_sel_hi:[1,1,0]
	v_pk_fma_f32 v[0:1], v[60:61], v[136:137], v[0:1] op_sel:[0,0,1] op_sel_hi:[1,1,0] neg_lo:[0,0,1] neg_hi:[0,0,1]
	v_pk_fma_f32 v[134:135], v[140:141], 2.0, v[130:131] op_sel_hi:[1,0,1] neg_lo:[0,0,1] neg_hi:[0,0,1]
	v_mov_b32_e32 v3, v1
	v_pk_add_f32 v[0:1], v[128:129], v[90:91] neg_lo:[0,1] neg_hi:[0,1]
	v_pk_add_f32 v[2:3], v[138:139], v[2:3] neg_lo:[0,1] neg_hi:[0,1]
	v_pk_fma_f32 v[60:61], v[128:129], 2.0, v[0:1] op_sel_hi:[1,0,1] neg_lo:[0,0,1] neg_hi:[0,0,1]
	v_pk_fma_f32 v[86:87], v[138:139], 2.0, v[2:3] op_sel_hi:[1,0,1] neg_lo:[0,0,1] neg_hi:[0,0,1]
	v_pk_add_f32 v[90:91], v[0:1], v[2:3] op_sel:[0,1] op_sel_hi:[1,0]
	v_pk_add_f32 v[2:3], v[0:1], v[2:3] op_sel:[0,1] op_sel_hi:[1,0] neg_lo:[0,1] neg_hi:[0,1]
	v_pk_add_f32 v[86:87], v[60:61], v[86:87] neg_lo:[0,1] neg_hi:[0,1]
	v_mov_b32_e32 v91, v3
	v_pk_fma_f32 v[60:61], v[60:61], 2.0, v[86:87] op_sel_hi:[1,0,1] neg_lo:[0,0,1] neg_hi:[0,0,1]
	v_pk_fma_f32 v[0:1], v[0:1], 2.0, v[90:91] op_sel_hi:[1,0,1] neg_lo:[0,0,1] neg_hi:[0,0,1]
	ds_write2_b64 v119, v[60:61], v[0:1] offset1:4
	ds_write2_b64 v119, v[86:87], v[90:91] offset0:8 offset1:12
	v_pk_add_f32 v[0:1], v[62:63], v[130:131] op_sel:[0,1] op_sel_hi:[1,0]
	v_pk_add_f32 v[2:3], v[62:63], v[130:131] op_sel:[0,1] op_sel_hi:[1,0] neg_lo:[0,1] neg_hi:[0,1]
	v_pk_add_f32 v[134:135], v[116:117], v[134:135] neg_lo:[0,1] neg_hi:[0,1]
	v_mov_b32_e32 v1, v3
	v_pk_fma_f32 v[116:117], v[116:117], 2.0, v[134:135] op_sel_hi:[1,0,1] neg_lo:[0,0,1] neg_hi:[0,0,1]
	v_pk_fma_f32 v[2:3], v[62:63], 2.0, v[0:1] op_sel_hi:[1,0,1] neg_lo:[0,0,1] neg_hi:[0,0,1]
	ds_write2_b64 v71, v[116:117], v[2:3] offset1:4
	ds_write2_b64 v71, v[134:135], v[0:1] offset0:8 offset1:12
	s_waitcnt lgkmcnt(0)
	s_barrier
	ds_read2_b64 v[0:3], v35 offset1:224
	ds_read2_b64 v[60:63], v64 offset1:224
	;; [unrolled: 1-line block ×4, first 2 shown]
	s_waitcnt lgkmcnt(0)
	v_pk_mul_f32 v[86:87], v[104:105], v[2:3]
	v_pk_mul_f32 v[104:105], v[104:105], v[0:1]
	v_pk_fma_f32 v[90:91], v[4:5], v[2:3], v[86:87] op_sel:[0,0,1] op_sel_hi:[1,1,0]
	v_pk_fma_f32 v[2:3], v[4:5], v[2:3], v[86:87] op_sel:[0,0,1] op_sel_hi:[1,1,0] neg_lo:[0,0,1] neg_hi:[0,0,1]
	s_barrier
	v_mov_b32_e32 v91, v3
	v_pk_mul_f32 v[2:3], v[92:93], v[116:117]
	s_nop 0
	v_pk_fma_f32 v[86:87], v[6:7], v[116:117], v[2:3] op_sel:[0,0,1] op_sel_hi:[1,1,0]
	v_pk_fma_f32 v[2:3], v[6:7], v[116:117], v[2:3] op_sel:[0,0,1] op_sel_hi:[1,1,0] neg_lo:[0,0,1] neg_hi:[0,0,1]
	s_nop 0
	v_mov_b32_e32 v87, v3
	v_pk_mul_f32 v[2:3], v[88:89], v[130:131]
	s_nop 0
	v_pk_fma_f32 v[106:107], v[58:59], v[130:131], v[2:3] op_sel:[0,0,1] op_sel_hi:[1,1,0]
	v_pk_fma_f32 v[2:3], v[58:59], v[130:131], v[2:3] op_sel:[0,0,1] op_sel_hi:[1,1,0] neg_lo:[0,0,1] neg_hi:[0,0,1]
	s_nop 0
	v_mov_b32_e32 v107, v3
	v_pk_add_f32 v[2:3], v[62:63], v[86:87] neg_lo:[0,1] neg_hi:[0,1]
	v_pk_add_f32 v[86:87], v[90:91], v[106:107] neg_lo:[0,1] neg_hi:[0,1]
	v_pk_fma_f32 v[106:107], v[4:5], v[0:1], v[104:105] op_sel:[0,0,1] op_sel_hi:[1,1,0]
	v_pk_fma_f32 v[0:1], v[4:5], v[0:1], v[104:105] op_sel:[0,0,1] op_sel_hi:[1,1,0] neg_lo:[0,0,1] neg_hi:[0,0,1]
	v_pk_fma_f32 v[62:63], v[62:63], 2.0, v[2:3] op_sel_hi:[1,0,1] neg_lo:[0,0,1] neg_hi:[0,0,1]
	v_mov_b32_e32 v107, v1
	v_pk_mul_f32 v[0:1], v[92:93], v[114:115]
	v_pk_fma_f32 v[90:91], v[90:91], 2.0, v[86:87] op_sel_hi:[1,0,1] neg_lo:[0,0,1] neg_hi:[0,0,1]
	v_pk_fma_f32 v[4:5], v[6:7], v[114:115], v[0:1] op_sel:[0,0,1] op_sel_hi:[1,1,0]
	v_pk_fma_f32 v[0:1], v[6:7], v[114:115], v[0:1] op_sel:[0,0,1] op_sel_hi:[1,1,0] neg_lo:[0,0,1] neg_hi:[0,0,1]
	v_pk_add_f32 v[90:91], v[62:63], v[90:91] neg_lo:[0,1] neg_hi:[0,1]
	v_mov_b32_e32 v5, v1
	v_pk_mul_f32 v[0:1], v[88:89], v[128:129]
	v_pk_fma_f32 v[62:63], v[62:63], 2.0, v[90:91] op_sel_hi:[1,0,1] neg_lo:[0,0,1] neg_hi:[0,0,1]
	v_pk_fma_f32 v[6:7], v[58:59], v[128:129], v[0:1] op_sel:[0,0,1] op_sel_hi:[1,1,0]
	v_pk_fma_f32 v[0:1], v[58:59], v[128:129], v[0:1] op_sel:[0,0,1] op_sel_hi:[1,1,0] neg_lo:[0,0,1] neg_hi:[0,0,1]
	s_nop 0
	v_mov_b32_e32 v7, v1
	v_pk_add_f32 v[0:1], v[60:61], v[4:5] neg_lo:[0,1] neg_hi:[0,1]
	v_pk_add_f32 v[6:7], v[106:107], v[6:7] neg_lo:[0,1] neg_hi:[0,1]
	v_pk_fma_f32 v[4:5], v[60:61], 2.0, v[0:1] op_sel_hi:[1,0,1] neg_lo:[0,0,1] neg_hi:[0,0,1]
	v_pk_fma_f32 v[58:59], v[106:107], 2.0, v[6:7] op_sel_hi:[1,0,1] neg_lo:[0,0,1] neg_hi:[0,0,1]
	v_pk_add_f32 v[60:61], v[0:1], v[6:7] op_sel:[0,1] op_sel_hi:[1,0]
	v_pk_add_f32 v[6:7], v[0:1], v[6:7] op_sel:[0,1] op_sel_hi:[1,0] neg_lo:[0,1] neg_hi:[0,1]
	v_pk_add_f32 v[58:59], v[4:5], v[58:59] neg_lo:[0,1] neg_hi:[0,1]
	v_mov_b32_e32 v61, v7
	v_pk_fma_f32 v[4:5], v[4:5], 2.0, v[58:59] op_sel_hi:[1,0,1] neg_lo:[0,0,1] neg_hi:[0,0,1]
	v_pk_fma_f32 v[0:1], v[0:1], 2.0, v[60:61] op_sel_hi:[1,0,1] neg_lo:[0,0,1] neg_hi:[0,0,1]
	ds_write2_b64 v121, v[4:5], v[0:1] offset1:16
	ds_write2_b64 v121, v[58:59], v[60:61] offset0:32 offset1:48
	v_pk_add_f32 v[0:1], v[2:3], v[86:87] op_sel:[0,1] op_sel_hi:[1,0]
	v_pk_add_f32 v[4:5], v[2:3], v[86:87] op_sel:[0,1] op_sel_hi:[1,0] neg_lo:[0,1] neg_hi:[0,1]
	s_nop 0
	v_mov_b32_e32 v1, v5
	v_pk_fma_f32 v[2:3], v[2:3], 2.0, v[0:1] op_sel_hi:[1,0,1] neg_lo:[0,0,1] neg_hi:[0,0,1]
	ds_write2_b64 v123, v[62:63], v[2:3] offset1:16
	ds_write2_b64 v123, v[90:91], v[0:1] offset0:32 offset1:48
	s_waitcnt lgkmcnt(0)
	s_barrier
	ds_read2_b64 v[2:5], v35 offset1:224
	ds_read2_b64 v[58:61], v118 offset1:224
	;; [unrolled: 1-line block ×4, first 2 shown]
	s_waitcnt lgkmcnt(0)
	v_mov_b32_e32 v0, v5
	v_pk_mul_f32 v[6:7], v[12:13], v[4:5] op_sel_hi:[1,0]
	s_barrier
	v_pk_fma_f32 v[62:63], v[12:13], v[0:1], v[6:7] op_sel:[0,0,1] op_sel_hi:[1,1,0] neg_lo:[0,0,1] neg_hi:[0,0,1]
	v_pk_fma_f32 v[0:1], v[12:13], v[4:5], v[6:7] op_sel:[0,1,1] op_sel_hi:[1,1,0]
	v_pk_mul_f32 v[6:7], v[94:95], v[60:61] op_sel_hi:[1,0]
	v_mov_b32_e32 v63, v1
	v_pk_mul_f32 v[0:1], v[100:101], v[92:93]
	s_nop 0
	v_pk_fma_f32 v[4:5], v[14:15], v[92:93], v[0:1] op_sel:[0,0,1] op_sel_hi:[1,1,0]
	v_pk_fma_f32 v[0:1], v[14:15], v[92:93], v[0:1] op_sel:[0,0,1] op_sel_hi:[1,1,0] neg_lo:[0,0,1] neg_hi:[0,0,1]
	s_nop 0
	v_mov_b32_e32 v0, v61
	v_mov_b32_e32 v5, v1
	v_pk_fma_f32 v[0:1], v[94:95], v[0:1], v[6:7] op_sel:[0,0,1] op_sel_hi:[1,1,0] neg_lo:[0,0,1] neg_hi:[0,0,1]
	v_pk_fma_f32 v[6:7], v[94:95], v[60:61], v[6:7] op_sel:[0,1,1] op_sel_hi:[1,1,0]
	v_pk_add_f32 v[4:5], v[88:89], v[4:5] neg_lo:[0,1] neg_hi:[0,1]
	v_mov_b32_e32 v1, v7
	v_pk_add_f32 v[6:7], v[62:63], v[0:1] neg_lo:[0,1] neg_hi:[0,1]
	s_nop 0
	v_pk_add_f32 v[0:1], v[4:5], v[6:7]
	v_pk_add_f32 v[12:13], v[4:5], v[6:7] neg_lo:[0,1] neg_hi:[0,1]
	v_pk_fma_f32 v[6:7], v[62:63], 2.0, v[6:7] op_sel_hi:[1,0,1] neg_lo:[0,0,1] neg_hi:[0,0,1]
	v_mov_b32_e32 v1, v13
	v_pk_mul_f32 v[12:13], v[102:103], v[2:3]
	s_nop 0
	v_pk_fma_f32 v[14:15], v[8:9], v[2:3], v[12:13] op_sel:[0,0,1] op_sel_hi:[1,1,0]
	v_pk_fma_f32 v[2:3], v[8:9], v[2:3], v[12:13] op_sel:[0,0,1] op_sel_hi:[1,1,0] neg_lo:[0,0,1] neg_hi:[0,0,1]
	s_nop 0
	v_mov_b32_e32 v15, v3
	v_pk_mul_f32 v[2:3], v[98:99], v[90:91]
	s_nop 0
	v_pk_fma_f32 v[8:9], v[10:11], v[90:91], v[2:3] op_sel:[0,0,1] op_sel_hi:[1,1,0]
	v_pk_fma_f32 v[2:3], v[10:11], v[90:91], v[2:3] op_sel:[0,0,1] op_sel_hi:[1,1,0] neg_lo:[0,0,1] neg_hi:[0,0,1]
	s_nop 0
	;; [unrolled: 6-line block ×3, first 2 shown]
	v_mov_b32_e32 v11, v3
	v_pk_add_f32 v[2:3], v[86:87], v[8:9] neg_lo:[0,1] neg_hi:[0,1]
	v_pk_add_f32 v[10:11], v[14:15], v[10:11] neg_lo:[0,1] neg_hi:[0,1]
	v_pk_fma_f32 v[8:9], v[86:87], 2.0, v[2:3] op_sel_hi:[1,0,1] neg_lo:[0,0,1] neg_hi:[0,0,1]
	v_pk_fma_f32 v[12:13], v[14:15], 2.0, v[10:11] op_sel_hi:[1,0,1] neg_lo:[0,0,1] neg_hi:[0,0,1]
	v_pk_add_f32 v[14:15], v[2:3], v[10:11] op_sel:[0,1] op_sel_hi:[1,0]
	v_pk_add_f32 v[10:11], v[2:3], v[10:11] op_sel:[0,1] op_sel_hi:[1,0] neg_lo:[0,1] neg_hi:[0,1]
	v_pk_add_f32 v[12:13], v[8:9], v[12:13] neg_lo:[0,1] neg_hi:[0,1]
	v_mov_b32_e32 v15, v11
	v_pk_fma_f32 v[8:9], v[8:9], 2.0, v[12:13] op_sel_hi:[1,0,1] neg_lo:[0,0,1] neg_hi:[0,0,1]
	v_pk_fma_f32 v[2:3], v[2:3], 2.0, v[14:15] op_sel_hi:[1,0,1] neg_lo:[0,0,1] neg_hi:[0,0,1]
	ds_write2st64_b64 v127, v[8:9], v[2:3] offset1:1
	ds_write2st64_b64 v127, v[12:13], v[14:15] offset0:2 offset1:3
	v_pk_fma_f32 v[2:3], v[88:89], 2.0, v[4:5] op_sel_hi:[1,0,1] neg_lo:[0,0,1] neg_hi:[0,0,1]
	v_pk_fma_f32 v[4:5], v[4:5], 2.0, v[0:1] op_sel_hi:[1,0,1] neg_lo:[0,0,1] neg_hi:[0,0,1]
	v_pk_add_f32 v[6:7], v[2:3], v[6:7] op_sel:[0,1] op_sel_hi:[1,0] neg_lo:[0,1] neg_hi:[0,1]
	s_nop 0
	v_pk_fma_f32 v[2:3], v[2:3], 2.0, v[6:7] op_sel_hi:[1,0,1] neg_lo:[0,0,1] neg_hi:[0,0,1]
	ds_write2st64_b64 v125, v[2:3], v[4:5] offset1:1
	ds_write2st64_b64 v125, v[6:7], v[0:1] offset0:2 offset1:3
	s_waitcnt lgkmcnt(0)
	s_barrier
	ds_read2st64_b64 v[4:7], v64 offset1:4
	ds_read2st64_b64 v[12:15], v64 offset0:8 offset1:12
	ds_read2st64_b64 v[8:11], v64 offset0:16 offset1:20
	ds_read_b64 v[58:59], v64 offset:12288
	s_and_saveexec_b64 s[8:9], s[2:3]
	s_xor_b64 s[2:3], exec, s[8:9]
	s_andn2_saveexec_b64 s[2:3], s[2:3]
	s_cbranch_execz .LBB0_7
; %bb.6:
	v_add_u32_e32 v35, 0x100, v64
	ds_read_b64 v[50:51], v64 offset:14080
	ds_read2st64_b64 v[40:43], v35 offset0:11 offset1:15
	ds_read2st64_b64 v[0:3], v35 offset0:3 offset1:7
	;; [unrolled: 1-line block ×3, first 2 shown]
	s_waitcnt lgkmcnt(3)
	v_mov_b32_e32 v48, v50
	s_waitcnt lgkmcnt(2)
	v_mov_b32_e32 v49, v43
	v_mov_b32_e32 v50, v51
	;; [unrolled: 1-line block ×3, first 2 shown]
	s_waitcnt lgkmcnt(1)
	v_mov_b32_e32 v42, v2
	s_waitcnt lgkmcnt(0)
	v_mov_b32_e32 v43, v45
	v_mov_b32_e32 v52, v3
	;; [unrolled: 1-line block ×3, first 2 shown]
.LBB0_7:
	s_or_b64 exec, exec, s[2:3]
	s_waitcnt lgkmcnt(3)
	v_mov_b32_e32 v2, v7
	s_waitcnt lgkmcnt(2)
	v_mov_b32_e32 v3, v14
	v_mov_b32_e32 v61, v15
	v_pk_mul_f32 v[2:3], v[32:33], v[2:3]
	v_pk_mul_f32 v[32:33], v[38:39], v[12:13]
	v_mov_b32_e32 v63, v38
	v_mov_b32_e32 v38, v14
	;; [unrolled: 1-line block ×4, first 2 shown]
	s_waitcnt lgkmcnt(0)
	v_mov_b32_e32 v44, v59
	v_mov_b32_e32 v39, v13
	v_pk_mul_f32 v[12:13], v[112:113], v[14:15]
	v_mov_b32_e32 v14, v8
	v_mov_b32_e32 v15, v10
	;; [unrolled: 1-line block ×5, first 2 shown]
	v_pk_mul_f32 v[6:7], v[36:37], v[6:7] op_sel:[0,1] op_sel_hi:[1,0]
	v_pk_mul_f32 v[14:15], v[54:55], v[14:15]
	v_mov_b32_e32 v54, v9
	v_mov_b32_e32 v55, v11
	;; [unrolled: 1-line block ×3, first 2 shown]
	v_pk_mul_f32 v[8:9], v[56:57], v[44:45]
	v_mul_f32_e32 v45, v28, v10
	v_mul_f32_e32 v11, v29, v11
	v_pk_mul_f32 v[28:29], v[30:31], v[58:59] op_sel:[0,1] op_sel_hi:[1,0]
	v_mov_b32_e32 v86, v30
	v_mov_b32_e32 v30, v6
	;; [unrolled: 1-line block ×4, first 2 shown]
	v_pk_add_f32 v[6:7], v[30:31], v[28:29] neg_lo:[0,1] neg_hi:[0,1]
	v_mov_b32_e32 v44, v32
	v_mov_b32_e32 v10, v33
	;; [unrolled: 1-line block ×7, first 2 shown]
	v_pk_add_f32 v[10:11], v[44:45], v[10:11]
	v_pk_add_f32 v[28:29], v[28:29], v[6:7]
	v_pk_fma_f32 v[32:33], v[36:37], v[38:39], v[12:13]
	v_mov_b32_e32 v28, v11
	v_pk_fma_f32 v[12:13], v[62:63], v[38:39], v[12:13] neg_lo:[0,0,1] neg_hi:[0,0,1]
	v_pk_fma_f32 v[36:37], v[110:111], v[60:61], v[2:3]
	v_pk_fma_f32 v[2:3], v[110:111], v[60:61], v[2:3] neg_lo:[0,0,1] neg_hi:[0,0,1]
	v_pk_fma_f32 v[38:39], v[108:109], v[54:55], v[14:15]
	;; [unrolled: 2-line block ×3, first 2 shown]
	v_pk_fma_f32 v[8:9], v[86:87], v[34:35], v[8:9] neg_lo:[0,0,1] neg_hi:[0,0,1]
	v_pk_add_f32 v[30:31], v[10:11], v[28:29]
	v_mov_b32_e32 v33, v13
	v_mov_b32_e32 v37, v3
	;; [unrolled: 1-line block ×11, first 2 shown]
	v_pk_add_f32 v[10:11], v[12:13], v[10:11] neg_lo:[0,1] neg_hi:[0,1]
	v_pk_add_f32 v[12:13], v[32:33], v[38:39]
	v_pk_add_f32 v[14:15], v[36:37], v[44:45]
	v_mov_b32_e32 v8, v9
	v_mov_b32_e32 v9, v38
	;; [unrolled: 1-line block ×4, first 2 shown]
	v_pk_add_f32 v[6:7], v[34:35], v[6:7] neg_lo:[0,1] neg_hi:[0,1]
	v_pk_add_f32 v[2:3], v[8:9], v[2:3] neg_lo:[0,1] neg_hi:[0,1]
	v_mov_b32_e32 v31, v13
	v_mov_b32_e32 v28, v14
	;; [unrolled: 1-line block ×6, first 2 shown]
	s_mov_b32 s14, 0xbeae86e6
	v_pk_add_f32 v[8:9], v[30:31], v[28:29]
	v_pk_add_f32 v[32:33], v[32:33], v[34:35] neg_lo:[0,1] neg_hi:[0,1]
	v_pk_add_f32 v[34:35], v[14:15], v[12:13] neg_lo:[0,1] neg_hi:[0,1]
	v_mov_b32_e32 v38, v2
	v_mov_b32_e32 v39, v7
	;; [unrolled: 1-line block ×5, first 2 shown]
	s_mov_b32 s22, 0x3d64c772
	s_mov_b32 s15, 0x3f08b237
	v_pk_add_f32 v[36:37], v[2:3], v[10:11]
	v_pk_add_f32 v[38:39], v[38:39], v[44:45] neg_lo:[0,1] neg_hi:[0,1]
	v_mov_b32_e32 v44, v6
	v_mov_b32_e32 v3, v11
	v_pk_add_f32 v[8:9], v[12:13], v[8:9]
	s_mov_b32 s23, 0x3f4a47b2
	s_mov_b32 s16, s15
	;; [unrolled: 1-line block ×3, first 2 shown]
	v_pk_add_f32 v[2:3], v[44:45], v[2:3] neg_lo:[0,1] neg_hi:[0,1]
	v_pk_add_f32 v[4:5], v[4:5], v[8:9]
	s_mov_b32 s20, 0xbf955555
	v_pk_mul_f32 v[14:15], v[32:33], s[22:23]
	s_mov_b32 s24, s23
	s_mov_b32 s25, s22
	v_pk_mul_f32 v[38:39], v[38:39], s[16:17]
	v_pk_add_f32 v[12:13], v[36:37], v[6:7]
	v_pk_mul_f32 v[32:33], v[34:35], s[24:25]
	s_mov_b32 s2, 0xbee1c552
	v_pk_mul_f32 v[36:37], v[2:3], s[14:15]
	v_pk_fma_f32 v[8:9], v[8:9], s[20:21], v[4:5] op_sel_hi:[1,0,1]
	v_pk_fma_f32 v[34:35], v[34:35], s[24:25], v[14:15]
	v_pk_fma_f32 v[2:3], v[2:3], s[14:15], v[38:39]
	v_pk_add_f32 v[34:35], v[34:35], v[8:9]
	v_pk_fma_f32 v[2:3], v[12:13], s[2:3], v[2:3] op_sel_hi:[1,0,1]
	v_pk_add_f32 v[6:7], v[10:11], v[6:7] neg_lo:[0,1] neg_hi:[0,1]
	v_pk_add_f32 v[44:45], v[34:35], v[2:3] neg_lo:[0,1] neg_hi:[0,1]
	v_pk_add_f32 v[2:3], v[34:35], v[2:3]
	v_mov_b32_e32 v35, v45
	v_mov_b32_e32 v34, v2
	ds_write2st64_b64 v64, v[4:5], v[34:35] offset1:4
	v_pk_add_f32 v[4:5], v[30:31], v[28:29] neg_lo:[0,1] neg_hi:[0,1]
	s_mov_b32 s8, 0x3f3bfb3b
	s_mov_b32 s10, 0xbf5ff5aa
	v_mov_b32_e32 v10, v32
	v_mov_b32_e32 v11, v15
	;; [unrolled: 1-line block ×6, first 2 shown]
	v_pk_fma_f32 v[10:11], v[4:5], s[8:9], v[10:11] op_sel_hi:[1,0,1] neg_lo:[1,0,1] neg_hi:[1,0,1]
	v_pk_fma_f32 v[28:29], v[6:7], s[10:11], v[28:29] op_sel_hi:[1,0,1] neg_lo:[1,0,1] neg_hi:[1,0,1]
	v_pk_fma_f32 v[4:5], v[4:5], s[8:9], v[14:15] op_sel_hi:[1,0,1] neg_lo:[0,0,1] neg_hi:[0,0,1]
	v_pk_fma_f32 v[6:7], v[6:7], s[10:11], v[38:39] op_sel_hi:[1,0,1] neg_lo:[0,0,1] neg_hi:[0,0,1]
	v_pk_add_f32 v[10:11], v[10:11], v[8:9]
	v_pk_fma_f32 v[28:29], v[12:13], s[2:3], v[28:29] op_sel_hi:[1,0,1]
	v_pk_add_f32 v[4:5], v[4:5], v[8:9]
	v_pk_fma_f32 v[6:7], v[12:13], s[2:3], v[6:7] op_sel_hi:[1,0,1]
	v_pk_add_f32 v[30:31], v[10:11], v[28:29] neg_lo:[0,1] neg_hi:[0,1]
	v_pk_add_f32 v[10:11], v[10:11], v[28:29]
	v_pk_add_f32 v[8:9], v[4:5], v[6:7]
	v_pk_add_f32 v[4:5], v[4:5], v[6:7] neg_lo:[0,1] neg_hi:[0,1]
	v_mov_b32_e32 v28, v10
	v_mov_b32_e32 v29, v31
	;; [unrolled: 1-line block ×7, first 2 shown]
	ds_write2st64_b64 v64, v[28:29], v[6:7] offset0:8 offset1:12
	ds_write2st64_b64 v64, v[8:9], v[30:31] offset0:16 offset1:20
	ds_write_b64 v64, v[44:45] offset:12288
	s_and_saveexec_b64 s[18:19], s[0:1]
	s_cbranch_execz .LBB0_9
; %bb.8:
	v_mov_b32_e32 v28, v19
	v_mov_b32_e32 v29, v23
	;; [unrolled: 1-line block ×4, first 2 shown]
	v_pk_mul_f32 v[28:29], v[28:29], v[30:31]
	v_mov_b32_e32 v31, v24
	v_mov_b32_e32 v36, v17
	;; [unrolled: 1-line block ×5, first 2 shown]
	v_pk_mul_f32 v[24:25], v[24:25], v[46:47]
	v_mov_b32_e32 v11, v22
	v_pk_mul_f32 v[36:37], v[36:37], v[38:39]
	v_pk_mul_f32 v[22:23], v[22:23], v[40:41]
	v_mov_b32_e32 v38, v24
	v_mov_b32_e32 v24, v27
	v_mov_b32_e32 v4, v21
	v_mov_b32_e32 v5, v19
	v_mov_b32_e32 v8, v27
	v_mov_b32_e32 v9, v17
	v_mov_b32_e32 v39, v22
	v_mov_b32_e32 v22, v25
	v_pk_mul_f32 v[24:25], v[24:25], v[48:49]
	v_mov_b32_e32 v2, v20
	v_mov_b32_e32 v3, v18
	v_pk_mul_f32 v[4:5], v[4:5], v[52:53]
	v_mov_b32_e32 v6, v26
	v_mov_b32_e32 v7, v16
	;; [unrolled: 3-line block ×3, first 2 shown]
	v_mov_b32_e32 v14, v53
	v_mov_b32_e32 v15, v41
	;; [unrolled: 1-line block ×6, first 2 shown]
	v_pk_fma_f32 v[24:25], v[26:27], v[50:51], v[24:25] neg_lo:[0,0,1] neg_hi:[0,0,1]
	v_mov_b32_e32 v26, v21
	v_pk_add_f32 v[22:23], v[38:39], v[22:23]
	v_pk_mul_f32 v[26:27], v[26:27], v[42:43]
	v_pk_fma_f32 v[40:41], v[6:7], v[48:49], v[8:9]
	v_pk_fma_f32 v[6:7], v[6:7], v[48:49], v[8:9] neg_lo:[0,0,1] neg_hi:[0,0,1]
	v_pk_fma_f32 v[8:9], v[2:3], v[42:43], v[4:5]
	v_pk_fma_f32 v[2:3], v[2:3], v[42:43], v[4:5] neg_lo:[0,0,1] neg_hi:[0,0,1]
	;; [unrolled: 2-line block ×4, first 2 shown]
	v_pk_fma_f32 v[20:21], v[20:21], v[52:53], v[26:27] neg_lo:[0,0,1] neg_hi:[0,0,1]
	v_mov_b32_e32 v38, v23
	v_mov_b32_e32 v41, v7
	;; [unrolled: 1-line block ×5, first 2 shown]
	v_pk_add_f32 v[26:27], v[24:25], v[20:21]
	v_pk_add_f32 v[38:39], v[22:23], v[38:39]
	;; [unrolled: 1-line block ×4, first 2 shown]
	v_mov_b32_e32 v2, v3
	v_mov_b32_e32 v3, v12
	;; [unrolled: 1-line block ×9, first 2 shown]
	v_pk_add_f32 v[2:3], v[2:3], v[6:7] neg_lo:[0,1] neg_hi:[0,1]
	v_mov_b32_e32 v4, v11
	v_mov_b32_e32 v5, v23
	;; [unrolled: 1-line block ×4, first 2 shown]
	v_pk_add_f32 v[32:33], v[32:33], v[38:39] neg_lo:[0,1] neg_hi:[0,1]
	v_mov_b32_e32 v39, v19
	v_mov_b32_e32 v34, v14
	;; [unrolled: 1-line block ×3, first 2 shown]
	v_pk_add_f32 v[8:9], v[20:21], v[24:25] neg_lo:[0,1] neg_hi:[0,1]
	v_pk_add_f32 v[4:5], v[4:5], v[6:7] neg_lo:[0,1] neg_hi:[0,1]
	;; [unrolled: 1-line block ×3, first 2 shown]
	v_pk_add_f32 v[26:27], v[38:39], v[34:35]
	v_mov_b32_e32 v19, v15
	v_mov_b32_e32 v12, v2
	;; [unrolled: 1-line block ×5, first 2 shown]
	v_pk_add_f32 v[14:15], v[18:19], v[26:27]
	v_mov_b32_e32 v6, v8
	v_mov_b32_e32 v7, v3
	;; [unrolled: 1-line block ×4, first 2 shown]
	v_pk_add_f32 v[12:13], v[12:13], v[16:17] neg_lo:[0,1] neg_hi:[0,1]
	v_pk_mul_f32 v[32:33], v[32:33], s[22:23]
	v_pk_add_f32 v[0:1], v[0:1], v[14:15]
	v_pk_add_f32 v[6:7], v[6:7], v[10:11] neg_lo:[0,1] neg_hi:[0,1]
	v_pk_mul_f32 v[12:13], v[12:13], s[16:17]
	v_pk_add_f32 v[2:3], v[2:3], v[4:5]
	v_pk_mul_f32 v[30:31], v[28:29], s[24:25]
	v_pk_fma_f32 v[28:29], v[28:29], s[24:25], v[32:33]
	v_pk_fma_f32 v[14:15], v[14:15], s[20:21], v[0:1] op_sel_hi:[1,0,1]
	v_pk_mul_f32 v[10:11], v[6:7], s[14:15]
	v_pk_fma_f32 v[6:7], v[6:7], s[14:15], v[12:13]
	v_pk_add_f32 v[2:3], v[2:3], v[8:9]
	v_pk_add_f32 v[18:19], v[28:29], v[14:15]
	v_pk_fma_f32 v[6:7], v[2:3], s[2:3], v[6:7] op_sel_hi:[1,0,1]
	v_pk_add_f32 v[4:5], v[4:5], v[8:9] neg_lo:[0,1] neg_hi:[0,1]
	v_pk_add_f32 v[16:17], v[18:19], v[6:7] neg_lo:[0,1] neg_hi:[0,1]
	v_pk_add_f32 v[6:7], v[18:19], v[6:7]
	v_mov_b32_e32 v19, v17
	v_mov_b32_e32 v18, v6
	v_add_u32_e32 v6, 0x100, v64
	v_mov_b32_e32 v8, v10
	v_mov_b32_e32 v9, v13
	;; [unrolled: 1-line block ×3, first 2 shown]
	ds_write2st64_b64 v6, v[0:1], v[18:19] offset0:3 offset1:7
	v_mov_b32_e32 v0, v30
	v_mov_b32_e32 v1, v33
	v_pk_add_f32 v[18:19], v[38:39], v[34:35] neg_lo:[0,1] neg_hi:[0,1]
	v_pk_fma_f32 v[8:9], v[4:5], s[10:11], v[8:9] op_sel_hi:[1,0,1] neg_lo:[1,0,1] neg_hi:[1,0,1]
	v_pk_fma_f32 v[4:5], v[4:5], s[10:11], v[12:13] op_sel_hi:[1,0,1] neg_lo:[0,0,1] neg_hi:[0,0,1]
	v_mov_b32_e32 v33, v31
	v_pk_fma_f32 v[0:1], v[18:19], s[8:9], v[0:1] op_sel_hi:[1,0,1] neg_lo:[1,0,1] neg_hi:[1,0,1]
	v_pk_fma_f32 v[8:9], v[2:3], s[2:3], v[8:9] op_sel_hi:[1,0,1]
	v_pk_fma_f32 v[2:3], v[2:3], s[2:3], v[4:5] op_sel_hi:[1,0,1]
	v_pk_fma_f32 v[4:5], v[18:19], s[8:9], v[32:33] op_sel_hi:[1,0,1] neg_lo:[0,0,1] neg_hi:[0,0,1]
	v_pk_add_f32 v[0:1], v[0:1], v[14:15]
	v_pk_add_f32 v[4:5], v[4:5], v[14:15]
	v_pk_add_f32 v[20:21], v[0:1], v[8:9] neg_lo:[0,1] neg_hi:[0,1]
	v_pk_add_f32 v[0:1], v[0:1], v[8:9]
	v_pk_add_f32 v[10:11], v[4:5], v[2:3]
	v_pk_add_f32 v[2:3], v[4:5], v[2:3] neg_lo:[0,1] neg_hi:[0,1]
	v_mov_b32_e32 v8, v0
	v_mov_b32_e32 v9, v21
	;; [unrolled: 1-line block ×7, first 2 shown]
	ds_write2st64_b64 v6, v[8:9], v[4:5] offset0:11 offset1:15
	ds_write2st64_b64 v6, v[10:11], v[20:21] offset0:19 offset1:23
	ds_write_b64 v64, v[16:17] offset:14080
.LBB0_9:
	s_or_b64 exec, exec, s[18:19]
	s_waitcnt lgkmcnt(0)
	s_barrier
	ds_read2_b64 v[0:3], v64 offset1:224
	v_mad_u64_u32 v[10:11], s[0:1], s6, v70, 0
	v_mov_b32_e32 v4, v11
	v_mad_u64_u32 v[4:5], s[0:1], s7, v70, v[4:5]
	v_mov_b32_e32 v11, v4
	s_waitcnt lgkmcnt(0)
	v_mul_f32_e32 v4, v85, v1
	v_fmac_f32_e32 v4, v84, v0
	v_mul_f32_e32 v0, v85, v0
	s_mov_b32 s0, 0x92492492
	v_fma_f32 v0, v84, v1, -v0
	s_mov_b32 s1, 0x3f424924
	v_cvt_f64_f32_e32 v[0:1], v0
	v_cvt_f64_f32_e32 v[4:5], v4
	v_mul_f64 v[0:1], v[0:1], s[0:1]
	v_mul_f64 v[4:5], v[4:5], s[0:1]
	v_cvt_f32_f64_e32 v13, v[0:1]
	v_mad_u64_u32 v[0:1], s[2:3], s4, v66, 0
	v_cvt_f32_f64_e32 v12, v[4:5]
	v_mov_b32_e32 v4, v1
	v_add_u32_e32 v1, 0xe00, v64
	v_mad_u64_u32 v[14:15], s[2:3], s5, v66, v[4:5]
	ds_read2_b64 v[4:7], v1 offset1:224
	v_mov_b32_e32 v8, s12
	v_mov_b32_e32 v9, s13
	;; [unrolled: 1-line block ×3, first 2 shown]
	v_lshl_add_u64 v[8:9], v[10:11], 3, v[8:9]
	v_lshl_add_u64 v[0:1], v[0:1], 3, v[8:9]
	s_waitcnt lgkmcnt(0)
	v_mul_f32_e32 v8, v81, v5
	v_fmac_f32_e32 v8, v80, v4
	v_mul_f32_e32 v4, v81, v4
	v_fma_f32 v4, v80, v5, -v4
	v_cvt_f64_f32_e32 v[4:5], v4
	v_cvt_f64_f32_e32 v[8:9], v8
	v_mul_f64 v[4:5], v[4:5], s[0:1]
	global_store_dwordx2 v[0:1], v[12:13], off
	v_mul_f64 v[8:9], v[8:9], s[0:1]
	v_cvt_f32_f64_e32 v13, v[4:5]
	v_add_u32_e32 v4, 0x1c00, v64
	v_cvt_f32_f64_e32 v12, v[8:9]
	ds_read2_b64 v[8:11], v4 offset1:224
	v_mov_b32_e32 v16, 0xe00
	v_mad_u64_u32 v[0:1], s[2:3], s4, v16, v[0:1]
	s_mul_i32 s6, s5, 0xe00
	s_waitcnt lgkmcnt(0)
	v_mul_f32_e32 v4, v77, v9
	v_fmac_f32_e32 v4, v76, v8
	v_cvt_f64_f32_e32 v[4:5], v4
	v_mul_f64 v[4:5], v[4:5], s[0:1]
	v_cvt_f32_f64_e32 v4, v[4:5]
	v_mul_f32_e32 v5, v77, v8
	v_fma_f32 v5, v76, v9, -v5
	v_cvt_f64_f32_e32 v[8:9], v5
	v_mul_f64 v[8:9], v[8:9], s[0:1]
	v_add_u32_e32 v1, s6, v1
	v_cvt_f32_f64_e32 v5, v[8:9]
	v_add_u32_e32 v8, 0x2a00, v64
	global_store_dwordx2 v[0:1], v[12:13], off
	ds_read2_b64 v[12:15], v8 offset1:224
	v_mad_u64_u32 v[0:1], s[2:3], s4, v16, v[0:1]
	v_add_u32_e32 v1, s6, v1
	global_store_dwordx2 v[0:1], v[4:5], off
	s_waitcnt lgkmcnt(0)
	v_mul_f32_e32 v4, v83, v13
	v_fmac_f32_e32 v4, v82, v12
	v_cvt_f64_f32_e32 v[4:5], v4
	v_mul_f64 v[4:5], v[4:5], s[0:1]
	v_cvt_f32_f64_e32 v4, v[4:5]
	v_mul_f32_e32 v5, v83, v12
	v_fma_f32 v5, v82, v13, -v5
	v_cvt_f64_f32_e32 v[8:9], v5
	v_mul_f64 v[8:9], v[8:9], s[0:1]
	v_mad_u64_u32 v[0:1], s[2:3], s4, v16, v[0:1]
	v_cvt_f32_f64_e32 v5, v[8:9]
	v_add_u32_e32 v1, s6, v1
	global_store_dwordx2 v[0:1], v[4:5], off
	v_mul_f32_e32 v4, v75, v3
	v_fmac_f32_e32 v4, v74, v2
	v_mul_f32_e32 v2, v75, v2
	v_fma_f32 v2, v74, v3, -v2
	v_cvt_f64_f32_e32 v[4:5], v4
	v_cvt_f64_f32_e32 v[2:3], v2
	v_mul_f64 v[4:5], v[4:5], s[0:1]
	v_mul_f64 v[2:3], v[2:3], s[0:1]
	v_cvt_f32_f64_e32 v4, v[4:5]
	v_cvt_f32_f64_e32 v5, v[2:3]
	v_mov_b32_e32 v2, 0xffffdd00
	v_mad_u64_u32 v[0:1], s[2:3], s4, v2, v[0:1]
	v_mul_f32_e32 v2, v79, v7
	v_fmac_f32_e32 v2, v78, v6
	v_cvt_f64_f32_e32 v[2:3], v2
	s_mul_i32 s2, s5, 0xffffdd00
	v_mul_f64 v[2:3], v[2:3], s[0:1]
	s_sub_i32 s2, s2, s4
	v_cvt_f32_f64_e32 v2, v[2:3]
	v_mul_f32_e32 v3, v79, v6
	v_add_u32_e32 v1, s2, v1
	v_fma_f32 v3, v78, v7, -v3
	global_store_dwordx2 v[0:1], v[4:5], off
	v_cvt_f64_f32_e32 v[4:5], v3
	v_mul_f64 v[4:5], v[4:5], s[0:1]
	v_mad_u64_u32 v[0:1], s[2:3], s4, v16, v[0:1]
	v_cvt_f32_f64_e32 v3, v[4:5]
	v_add_u32_e32 v1, s6, v1
	global_store_dwordx2 v[0:1], v[2:3], off
	v_mul_f32_e32 v2, v69, v11
	v_fmac_f32_e32 v2, v68, v10
	v_cvt_f64_f32_e32 v[2:3], v2
	v_mul_f64 v[2:3], v[2:3], s[0:1]
	v_cvt_f32_f64_e32 v2, v[2:3]
	v_mul_f32_e32 v3, v69, v10
	v_fma_f32 v3, v68, v11, -v3
	v_cvt_f64_f32_e32 v[4:5], v3
	v_mul_f64 v[4:5], v[4:5], s[0:1]
	v_mad_u64_u32 v[0:1], s[2:3], s4, v16, v[0:1]
	v_cvt_f32_f64_e32 v3, v[4:5]
	v_add_u32_e32 v1, s6, v1
	global_store_dwordx2 v[0:1], v[2:3], off
	v_mul_f32_e32 v2, v73, v15
	v_fmac_f32_e32 v2, v72, v14
	v_cvt_f64_f32_e32 v[2:3], v2
	v_mul_f64 v[2:3], v[2:3], s[0:1]
	v_cvt_f32_f64_e32 v2, v[2:3]
	v_mul_f32_e32 v3, v73, v14
	v_fma_f32 v3, v72, v15, -v3
	v_cvt_f64_f32_e32 v[4:5], v3
	v_mul_f64 v[4:5], v[4:5], s[0:1]
	v_mad_u64_u32 v[0:1], s[0:1], s4, v16, v[0:1]
	v_cvt_f32_f64_e32 v3, v[4:5]
	v_add_u32_e32 v1, s6, v1
	global_store_dwordx2 v[0:1], v[2:3], off
.LBB0_10:
	s_endpgm
	.section	.rodata,"a",@progbits
	.p2align	6, 0x0
	.amdhsa_kernel bluestein_single_back_len1792_dim1_sp_op_CI_CI
		.amdhsa_group_segment_fixed_size 14336
		.amdhsa_private_segment_fixed_size 0
		.amdhsa_kernarg_size 104
		.amdhsa_user_sgpr_count 2
		.amdhsa_user_sgpr_dispatch_ptr 0
		.amdhsa_user_sgpr_queue_ptr 0
		.amdhsa_user_sgpr_kernarg_segment_ptr 1
		.amdhsa_user_sgpr_dispatch_id 0
		.amdhsa_user_sgpr_kernarg_preload_length 0
		.amdhsa_user_sgpr_kernarg_preload_offset 0
		.amdhsa_user_sgpr_private_segment_size 0
		.amdhsa_uses_dynamic_stack 0
		.amdhsa_enable_private_segment 0
		.amdhsa_system_sgpr_workgroup_id_x 1
		.amdhsa_system_sgpr_workgroup_id_y 0
		.amdhsa_system_sgpr_workgroup_id_z 0
		.amdhsa_system_sgpr_workgroup_info 0
		.amdhsa_system_vgpr_workitem_id 0
		.amdhsa_next_free_vgpr 162
		.amdhsa_next_free_sgpr 26
		.amdhsa_accum_offset 164
		.amdhsa_reserve_vcc 1
		.amdhsa_float_round_mode_32 0
		.amdhsa_float_round_mode_16_64 0
		.amdhsa_float_denorm_mode_32 3
		.amdhsa_float_denorm_mode_16_64 3
		.amdhsa_dx10_clamp 1
		.amdhsa_ieee_mode 1
		.amdhsa_fp16_overflow 0
		.amdhsa_tg_split 0
		.amdhsa_exception_fp_ieee_invalid_op 0
		.amdhsa_exception_fp_denorm_src 0
		.amdhsa_exception_fp_ieee_div_zero 0
		.amdhsa_exception_fp_ieee_overflow 0
		.amdhsa_exception_fp_ieee_underflow 0
		.amdhsa_exception_fp_ieee_inexact 0
		.amdhsa_exception_int_div_zero 0
	.end_amdhsa_kernel
	.text
.Lfunc_end0:
	.size	bluestein_single_back_len1792_dim1_sp_op_CI_CI, .Lfunc_end0-bluestein_single_back_len1792_dim1_sp_op_CI_CI
                                        ; -- End function
	.section	.AMDGPU.csdata,"",@progbits
; Kernel info:
; codeLenInByte = 9000
; NumSgprs: 32
; NumVgprs: 162
; NumAgprs: 0
; TotalNumVgprs: 162
; ScratchSize: 0
; MemoryBound: 0
; FloatMode: 240
; IeeeMode: 1
; LDSByteSize: 14336 bytes/workgroup (compile time only)
; SGPRBlocks: 3
; VGPRBlocks: 20
; NumSGPRsForWavesPerEU: 32
; NumVGPRsForWavesPerEU: 162
; AccumOffset: 164
; Occupancy: 3
; WaveLimiterHint : 1
; COMPUTE_PGM_RSRC2:SCRATCH_EN: 0
; COMPUTE_PGM_RSRC2:USER_SGPR: 2
; COMPUTE_PGM_RSRC2:TRAP_HANDLER: 0
; COMPUTE_PGM_RSRC2:TGID_X_EN: 1
; COMPUTE_PGM_RSRC2:TGID_Y_EN: 0
; COMPUTE_PGM_RSRC2:TGID_Z_EN: 0
; COMPUTE_PGM_RSRC2:TIDIG_COMP_CNT: 0
; COMPUTE_PGM_RSRC3_GFX90A:ACCUM_OFFSET: 40
; COMPUTE_PGM_RSRC3_GFX90A:TG_SPLIT: 0
	.text
	.p2alignl 6, 3212836864
	.fill 256, 4, 3212836864
	.type	__hip_cuid_67dee03b9a1e42c3,@object ; @__hip_cuid_67dee03b9a1e42c3
	.section	.bss,"aw",@nobits
	.globl	__hip_cuid_67dee03b9a1e42c3
__hip_cuid_67dee03b9a1e42c3:
	.byte	0                               ; 0x0
	.size	__hip_cuid_67dee03b9a1e42c3, 1

	.ident	"AMD clang version 19.0.0git (https://github.com/RadeonOpenCompute/llvm-project roc-6.4.0 25133 c7fe45cf4b819c5991fe208aaa96edf142730f1d)"
	.section	".note.GNU-stack","",@progbits
	.addrsig
	.addrsig_sym __hip_cuid_67dee03b9a1e42c3
	.amdgpu_metadata
---
amdhsa.kernels:
  - .agpr_count:     0
    .args:
      - .actual_access:  read_only
        .address_space:  global
        .offset:         0
        .size:           8
        .value_kind:     global_buffer
      - .actual_access:  read_only
        .address_space:  global
        .offset:         8
        .size:           8
        .value_kind:     global_buffer
      - .actual_access:  read_only
        .address_space:  global
        .offset:         16
        .size:           8
        .value_kind:     global_buffer
      - .actual_access:  read_only
        .address_space:  global
        .offset:         24
        .size:           8
        .value_kind:     global_buffer
      - .actual_access:  read_only
        .address_space:  global
        .offset:         32
        .size:           8
        .value_kind:     global_buffer
      - .offset:         40
        .size:           8
        .value_kind:     by_value
      - .address_space:  global
        .offset:         48
        .size:           8
        .value_kind:     global_buffer
      - .address_space:  global
        .offset:         56
        .size:           8
        .value_kind:     global_buffer
      - .address_space:  global
        .offset:         64
        .size:           8
        .value_kind:     global_buffer
      - .address_space:  global
        .offset:         72
        .size:           8
        .value_kind:     global_buffer
      - .offset:         80
        .size:           4
        .value_kind:     by_value
      - .address_space:  global
        .offset:         88
        .size:           8
        .value_kind:     global_buffer
      - .address_space:  global
        .offset:         96
        .size:           8
        .value_kind:     global_buffer
    .group_segment_fixed_size: 14336
    .kernarg_segment_align: 8
    .kernarg_segment_size: 104
    .language:       OpenCL C
    .language_version:
      - 2
      - 0
    .max_flat_workgroup_size: 224
    .name:           bluestein_single_back_len1792_dim1_sp_op_CI_CI
    .private_segment_fixed_size: 0
    .sgpr_count:     32
    .sgpr_spill_count: 0
    .symbol:         bluestein_single_back_len1792_dim1_sp_op_CI_CI.kd
    .uniform_work_group_size: 1
    .uses_dynamic_stack: false
    .vgpr_count:     162
    .vgpr_spill_count: 0
    .wavefront_size: 64
amdhsa.target:   amdgcn-amd-amdhsa--gfx950
amdhsa.version:
  - 1
  - 2
...

	.end_amdgpu_metadata
